;; amdgpu-corpus repo=ROCm/rocFFT kind=compiled arch=gfx950 opt=O3
	.text
	.amdgcn_target "amdgcn-amd-amdhsa--gfx950"
	.amdhsa_code_object_version 6
	.protected	bluestein_single_fwd_len1365_dim1_sp_op_CI_CI ; -- Begin function bluestein_single_fwd_len1365_dim1_sp_op_CI_CI
	.globl	bluestein_single_fwd_len1365_dim1_sp_op_CI_CI
	.p2align	8
	.type	bluestein_single_fwd_len1365_dim1_sp_op_CI_CI,@function
bluestein_single_fwd_len1365_dim1_sp_op_CI_CI: ; @bluestein_single_fwd_len1365_dim1_sp_op_CI_CI
; %bb.0:
	s_load_dwordx4 s[12:15], s[0:1], 0x28
	v_mul_u32_u24_e32 v1, 0x2d1, v0
	v_lshrrev_b32_e32 v6, 16, v1
	v_mov_b32_e32 v137, 0
	v_lshl_add_u32 v8, s2, 1, v6
	v_mov_b32_e32 v9, v137
	s_waitcnt lgkmcnt(0)
	v_cmp_gt_u64_e32 vcc, s[12:13], v[8:9]
	s_and_saveexec_b64 s[2:3], vcc
	s_cbranch_execz .LBB0_23
; %bb.1:
	s_load_dwordx4 s[8:11], s[0:1], 0x18
	s_load_dwordx2 s[16:17], s[0:1], 0x0
	v_mul_lo_u16_e32 v1, 0x5b, v6
	v_sub_u16_e32 v136, v0, v1
	v_accvgpr_write_b32 a18, v8
	s_waitcnt lgkmcnt(0)
	s_load_dwordx4 s[4:7], s[8:9], 0x0
	v_mov_b32_e32 v2, s14
	v_mov_b32_e32 v3, s15
	v_and_b32_e32 v6, 1, v6
	v_mov_b32_e32 v7, 0x555
	s_waitcnt lgkmcnt(0)
	v_mad_u64_u32 v[0:1], s[2:3], s6, v8, 0
	v_mov_b32_e32 v4, v1
	v_mad_u64_u32 v[4:5], s[2:3], s7, v8, v[4:5]
	v_mov_b32_e32 v1, v4
	;; [unrolled: 2-line block ×3, first 2 shown]
	v_mad_u64_u32 v[8:9], s[2:3], s5, v136, v[8:9]
	s_mul_i32 s2, s5, 0x69
	s_mul_hi_u32 s3, s4, 0x69
	v_mov_b32_e32 v5, v8
	v_lshl_add_u64 v[0:1], v[0:1], 3, v[2:3]
	s_add_i32 s3, s3, s2
	s_mul_i32 s2, s4, 0x69
	v_lshl_add_u64 v[0:1], v[4:5], 3, v[0:1]
	s_lshl_b64 s[2:3], s[2:3], 3
	v_lshlrev_b32_e32 v8, 3, v136
	global_load_dwordx2 v[10:11], v[0:1], off
	v_lshl_add_u64 v[0:1], v[0:1], 0, s[2:3]
	global_load_dwordx2 v[60:61], v8, s[16:17]
	global_load_dwordx2 v[12:13], v[0:1], off
	global_load_dwordx2 v[58:59], v8, s[16:17] offset:840
	v_lshl_add_u64 v[0:1], v[0:1], 0, s[2:3]
	v_mov_b32_e32 v9, v137
	global_load_dwordx2 v[56:57], v8, s[16:17] offset:1680
	global_load_dwordx2 v[14:15], v[0:1], off
	v_lshl_add_u64 v[0:1], v[0:1], 0, s[2:3]
	v_lshl_add_u64 v[32:33], s[16:17], 0, v[8:9]
	global_load_dwordx2 v[16:17], v[0:1], off
	global_load_dwordx2 v[54:55], v8, s[16:17] offset:2520
	v_lshl_add_u64 v[0:1], v[0:1], 0, s[2:3]
	s_movk_i32 s6, 0x1000
	global_load_dwordx2 v[18:19], v[0:1], off
	global_load_dwordx2 v[50:51], v8, s[16:17] offset:3360
	v_lshl_add_u64 v[2:3], v[0:1], 0, s[2:3]
	v_add_co_u32_e32 v0, vcc, s6, v32
	global_load_dwordx2 v[20:21], v[2:3], off
	s_nop 0
	v_addc_co_u32_e32 v1, vcc, 0, v33, vcc
	global_load_dwordx2 v[52:53], v[0:1], off offset:104
	v_lshl_add_u64 v[2:3], v[2:3], 0, s[2:3]
	global_load_dwordx2 v[22:23], v[2:3], off
	global_load_dwordx2 v[48:49], v[0:1], off offset:944
	v_lshl_add_u64 v[2:3], v[2:3], 0, s[2:3]
	global_load_dwordx2 v[24:25], v[2:3], off
	;; [unrolled: 3-line block ×3, first 2 shown]
	global_load_dwordx2 v[44:45], v[0:1], off offset:2624
	v_lshl_add_u64 v[2:3], v[2:3], 0, s[2:3]
	s_movk_i32 s6, 0x2000
	global_load_dwordx2 v[28:29], v[2:3], off
	global_load_dwordx2 v[42:43], v[0:1], off offset:3464
	v_lshl_add_u64 v[4:5], v[2:3], 0, s[2:3]
	v_add_co_u32_e32 v2, vcc, s6, v32
	global_load_dwordx2 v[30:31], v[4:5], off
	s_nop 0
	v_addc_co_u32_e32 v3, vcc, 0, v33, vcc
	v_accvgpr_write_b32 a0, v32
	global_load_dwordx2 v[40:41], v[2:3], off offset:208
	v_lshl_add_u64 v[4:5], v[4:5], 0, s[2:3]
	v_accvgpr_write_b32 a1, v33
	global_load_dwordx2 v[32:33], v[4:5], off
	global_load_dwordx2 v[38:39], v[2:3], off offset:1048
	v_lshl_add_u64 v[4:5], v[4:5], 0, s[2:3]
	global_load_dwordx2 v[36:37], v[2:3], off offset:1888
	global_load_dwordx2 v[34:35], v[4:5], off
	v_cmp_eq_u32_e32 vcc, 1, v6
	s_load_dwordx2 s[12:13], s[0:1], 0x38
	v_cmp_gt_u16_e64 s[6:7], 14, v136
	v_cndmask_b32_e32 v6, 0, v7, vcc
	v_lshlrev_b32_e32 v208, 3, v6
	v_add_u32_e32 v214, v208, v8
	s_load_dwordx4 s[8:11], s[10:11], 0x0
	s_waitcnt vmcnt(24)
	v_accvgpr_write_b32 a30, v60
	v_mul_f32_e32 v6, v11, v61
	v_mul_f32_e32 v7, v10, v61
	s_waitcnt vmcnt(22)
	v_mul_f32_e32 v8, v13, v59
	v_mul_f32_e32 v9, v12, v59
	v_fmac_f32_e32 v6, v10, v60
	v_fma_f32 v7, v11, v60, -v7
	v_fmac_f32_e32 v8, v12, v58
	v_fma_f32 v9, v13, v58, -v9
	s_waitcnt vmcnt(20)
	v_mul_f32_e32 v10, v15, v57
	v_mul_f32_e32 v11, v14, v57
	ds_write2_b64 v214, v[6:7], v[8:9] offset1:105
	s_waitcnt vmcnt(18)
	v_mul_f32_e32 v8, v17, v55
	v_mul_f32_e32 v6, v16, v55
	v_fmac_f32_e32 v10, v14, v56
	v_fma_f32 v11, v15, v56, -v11
	v_fmac_f32_e32 v8, v16, v54
	v_fma_f32 v9, v17, v54, -v6
	v_add_u32_e32 v6, 0x400, v214
	s_waitcnt vmcnt(16)
	v_mul_f32_e32 v7, v18, v51
	ds_write2_b64 v6, v[10:11], v[8:9] offset0:82 offset1:187
	v_mul_f32_e32 v8, v19, v51
	v_fma_f32 v9, v19, v50, -v7
	s_waitcnt vmcnt(14)
	v_mul_f32_e32 v10, v21, v53
	v_mul_f32_e32 v7, v20, v53
	v_fmac_f32_e32 v8, v18, v50
	v_fmac_f32_e32 v10, v20, v52
	v_fma_f32 v11, v21, v52, -v7
	v_add_u32_e32 v7, 0xc00, v214
	ds_write2_b64 v7, v[8:9], v[10:11] offset0:36 offset1:141
	s_waitcnt vmcnt(12)
	v_mul_f32_e32 v8, v22, v49
	v_mul_f32_e32 v10, v23, v49
	v_fma_f32 v11, v23, v48, -v8
	s_waitcnt vmcnt(10)
	v_mul_f32_e32 v12, v25, v47
	v_mul_f32_e32 v8, v24, v47
	v_fmac_f32_e32 v10, v22, v48
	v_fmac_f32_e32 v12, v24, v46
	v_fma_f32 v13, v25, v46, -v8
	v_add_u32_e32 v8, 0x1000, v214
	s_waitcnt vmcnt(8)
	v_mul_f32_e32 v9, v26, v45
	ds_write2_b64 v8, v[10:11], v[12:13] offset0:118 offset1:223
	v_mul_f32_e32 v10, v27, v45
	v_fma_f32 v11, v27, v44, -v9
	s_waitcnt vmcnt(6)
	v_mul_f32_e32 v12, v29, v43
	v_mul_f32_e32 v9, v28, v43
	v_fmac_f32_e32 v10, v26, v44
	v_fmac_f32_e32 v12, v28, v42
	v_fma_f32 v13, v29, v42, -v9
	v_add_u32_e32 v9, 0x1800, v214
	ds_write2_b64 v9, v[10:11], v[12:13] offset0:72 offset1:177
	s_waitcnt vmcnt(4)
	v_mul_f32_e32 v10, v30, v41
	v_mul_f32_e32 v12, v31, v41
	v_fma_f32 v13, v31, v40, -v10
	s_waitcnt vmcnt(2)
	v_mul_f32_e32 v14, v33, v39
	v_mul_f32_e32 v10, v32, v39
	v_fmac_f32_e32 v12, v30, v40
	v_fmac_f32_e32 v14, v32, v38
	v_fma_f32 v15, v33, v38, -v10
	v_add_u32_e32 v10, 0x2000, v214
	v_accvgpr_write_b32 a28, v58
	v_accvgpr_write_b32 a26, v56
	;; [unrolled: 1-line block ×11, first 2 shown]
	ds_write2_b64 v10, v[12:13], v[14:15] offset0:26 offset1:131
	s_waitcnt vmcnt(0)
	v_mul_f32_e32 v12, v35, v37
	v_mul_f32_e32 v11, v34, v37
	v_accvgpr_write_b32 a2, v36
	v_accvgpr_write_b32 a31, v61
	;; [unrolled: 1-line block ×13, first 2 shown]
	v_fmac_f32_e32 v12, v34, v36
	v_accvgpr_write_b32 a3, v37
	v_fma_f32 v13, v35, v36, -v11
	ds_write_b64 v214, v[12:13] offset:10080
	s_and_saveexec_b64 s[14:15], s[6:7]
	s_cbranch_execz .LBB0_3
; %bb.2:
	v_mov_b32_e32 v11, 0xffffdb78
	s_mulk_i32 s5, 0xdb78
	v_mad_u64_u32 v[4:5], s[18:19], s4, v11, v[4:5]
	s_sub_i32 s4, s5, s4
	v_accvgpr_read_b32 v31, a1
	v_add_u32_e32 v5, s4, v5
	v_accvgpr_read_b32 v30, a0
	global_load_dwordx2 v[12:13], v[4:5], off
	global_load_dwordx2 v[14:15], v[30:31], off offset:728
	v_lshl_add_u64 v[4:5], v[4:5], 0, s[2:3]
	global_load_dwordx2 v[16:17], v[4:5], off
	global_load_dwordx2 v[18:19], v[30:31], off offset:1568
	v_lshl_add_u64 v[4:5], v[4:5], 0, s[2:3]
	global_load_dwordx2 v[20:21], v[4:5], off
	global_load_dwordx2 v[22:23], v[30:31], off offset:2408
	global_load_dwordx2 v[24:25], v[30:31], off offset:3248
	v_lshl_add_u64 v[4:5], v[4:5], 0, s[2:3]
	global_load_dwordx2 v[26:27], v[4:5], off
	v_lshl_add_u64 v[4:5], v[4:5], 0, s[2:3]
	global_load_dwordx2 v[28:29], v[4:5], off
	s_nop 0
	global_load_dwordx2 v[30:31], v[30:31], off offset:4088
	v_lshl_add_u64 v[4:5], v[4:5], 0, s[2:3]
	global_load_dwordx2 v[32:33], v[4:5], off
	global_load_dwordx2 v[34:35], v[0:1], off offset:832
	v_lshl_add_u64 v[4:5], v[4:5], 0, s[2:3]
	global_load_dwordx2 v[36:37], v[4:5], off
	global_load_dwordx2 v[38:39], v[0:1], off offset:1672
	global_load_dwordx2 v[40:41], v[0:1], off offset:2512
	v_lshl_add_u64 v[4:5], v[4:5], 0, s[2:3]
	global_load_dwordx2 v[42:43], v[4:5], off
	v_lshl_add_u64 v[4:5], v[4:5], 0, s[2:3]
	global_load_dwordx2 v[44:45], v[4:5], off
	global_load_dwordx2 v[46:47], v[0:1], off offset:3352
	v_lshl_add_u64 v[0:1], v[4:5], 0, s[2:3]
	global_load_dwordx2 v[4:5], v[0:1], off
	global_load_dwordx2 v[48:49], v[2:3], off offset:96
	;; [unrolled: 3-line block ×3, first 2 shown]
	global_load_dwordx2 v[54:55], v[2:3], off offset:1776
	v_lshl_add_u64 v[0:1], v[0:1], 0, s[2:3]
	global_load_dwordx2 v[56:57], v[0:1], off
	global_load_dwordx2 v[58:59], v[2:3], off offset:2616
	v_lshl_add_u64 v[0:1], v[0:1], 0, s[2:3]
	global_load_dwordx2 v[0:1], v[0:1], off
	v_add_u32_e32 v11, 0x800, v214
	v_add_u32_e32 v60, 0x1400, v214
	;; [unrolled: 1-line block ×3, first 2 shown]
	s_waitcnt vmcnt(24)
	v_mul_f32_e32 v2, v13, v15
	v_mul_f32_e32 v3, v12, v15
	v_fmac_f32_e32 v2, v12, v14
	v_fma_f32 v3, v13, v14, -v3
	s_waitcnt vmcnt(22)
	v_mul_f32_e32 v12, v17, v19
	v_mul_f32_e32 v13, v16, v19
	v_fmac_f32_e32 v12, v16, v18
	v_fma_f32 v13, v17, v18, -v13
	s_waitcnt vmcnt(20)
	v_mul_f32_e32 v14, v21, v23
	v_mul_f32_e32 v15, v20, v23
	ds_write2_b64 v214, v[2:3], v[12:13] offset0:91 offset1:196
	s_waitcnt vmcnt(18)
	v_mul_f32_e32 v2, v27, v25
	v_mul_f32_e32 v3, v26, v25
	v_fmac_f32_e32 v14, v20, v22
	v_fma_f32 v15, v21, v22, -v15
	v_fmac_f32_e32 v2, v26, v24
	v_fma_f32 v3, v27, v24, -v3
	s_waitcnt vmcnt(16)
	v_mul_f32_e32 v12, v29, v31
	v_mul_f32_e32 v13, v28, v31
	ds_write2_b64 v11, v[14:15], v[2:3] offset0:45 offset1:150
	s_waitcnt vmcnt(14)
	v_mul_f32_e32 v2, v33, v35
	v_mul_f32_e32 v3, v32, v35
	v_fmac_f32_e32 v12, v28, v30
	v_fma_f32 v13, v29, v30, -v13
	;; [unrolled: 11-line block ×5, first 2 shown]
	v_fmac_f32_e32 v2, v56, v54
	v_fma_f32 v3, v57, v54, -v3
	ds_write2_b64 v10, v[4:5], v[2:3] offset0:117 offset1:222
	s_waitcnt vmcnt(0)
	v_mul_f32_e32 v2, v1, v59
	v_fmac_f32_e32 v2, v0, v58
	v_mul_f32_e32 v0, v0, v59
	v_fma_f32 v3, v1, v58, -v0
	ds_write_b64 v214, v[2:3] offset:10808
.LBB0_3:
	s_or_b64 exec, exec, s[14:15]
	s_waitcnt lgkmcnt(0)
	s_barrier
	ds_read2_b64 v[24:27], v214 offset1:105
	ds_read2_b64 v[52:55], v6 offset0:82 offset1:187
	ds_read2_b64 v[48:51], v7 offset0:36 offset1:141
	;; [unrolled: 1-line block ×5, first 2 shown]
	ds_read_b64 v[68:69], v214 offset:10080
	v_mov_b64_e32 v[8:9], 0
                                        ; implicit-def: $vgpr14
                                        ; implicit-def: $vgpr20
                                        ; implicit-def: $vgpr18
                                        ; implicit-def: $vgpr56
                                        ; implicit-def: $vgpr34
                                        ; implicit-def: $vgpr30
	s_and_saveexec_b64 s[2:3], s[6:7]
	s_cbranch_execz .LBB0_5
; %bb.4:
	v_add_u32_e32 v0, 0x800, v214
	ds_read2_b64 v[28:31], v0 offset0:45 offset1:150
	v_add_u32_e32 v0, 0xc00, v214
	ds_read2_b64 v[16:19], v0 offset0:127 offset1:232
	;; [unrolled: 2-line block ×5, first 2 shown]
	ds_read2_b64 v[32:35], v0 offset0:117 offset1:222
	ds_read_b64 v[56:57], v214 offset:10808
.LBB0_5:
	s_or_b64 exec, exec, s[2:3]
	s_mov_b32 s20, 0xbf52af12
	s_waitcnt lgkmcnt(0)
	v_pk_add_f32 v[2:3], v[10:11], v[56:57] neg_lo:[0,1] neg_hi:[0,1]
	v_pk_add_f32 v[108:109], v[10:11], v[56:57]
	v_pk_add_f32 v[118:119], v[16:17], v[22:23] neg_lo:[0,1] neg_hi:[0,1]
	s_mov_b32 s4, 0xbf6f5d39
	s_mov_b32 s21, 0x3f116cb1
	v_mov_b32_e32 v84, v108
	v_mov_b32_e32 v85, v2
	v_pk_add_f32 v[0:1], v[28:29], v[34:35] neg_lo:[0,1] neg_hi:[0,1]
	v_pk_add_f32 v[110:111], v[28:29], v[34:35]
	v_pk_add_f32 v[112:113], v[22:23], v[16:17]
	s_mov_b32 s28, 0xbeb58ec6
	v_pk_mul_f32 v[80:81], v[118:119], s[4:5] op_sel_hi:[1,0]
	s_mov_b32 s38, s21
	s_mov_b32 s39, s20
	s_mov_b64 s[2:3], 0x5b
	v_mov_b32_e32 v108, v3
	v_mov_b32_e32 v86, v110
	;; [unrolled: 1-line block ×3, first 2 shown]
	v_pk_fma_f32 v[82:83], v[112:113], s[28:29], v[80:81] op_sel:[0,0,1] op_sel_hi:[1,0,0] neg_lo:[0,0,1] neg_hi:[0,0,1]
	v_pk_fma_f32 v[80:81], v[112:113], s[28:29], v[80:81] op_sel:[0,0,1] op_sel_hi:[1,0,0]
	v_pk_mul_f32 v[134:135], v[84:85], s[38:39]
	s_mov_b32 s29, s4
	v_lshl_add_u64 v[72:73], v[136:137], 0, s[2:3]
	v_mov_b32_e32 v110, v1
	v_pk_add_f32 v[104:105], v[12:13], v[14:15] neg_lo:[0,1] neg_hi:[0,1]
	s_mov_b32 s18, 0xbe750f2a
	v_mov_b64_e32 v[158:159], v[136:137]
	v_pk_fma_f32 v[136:137], v[2:3], s[20:21], v[134:135] op_sel:[1,0,0] neg_lo:[1,0,0] neg_hi:[1,0,0]
	v_pk_fma_f32 v[138:139], v[108:109], s[20:21], v[134:135]
	s_mov_b32 s5, s28
	v_pk_mul_f32 v[140:141], v[86:87], s[28:29]
	v_pk_add_f32 v[6:7], v[30:31], v[32:33] neg_lo:[0,1] neg_hi:[0,1]
	v_pk_add_f32 v[4:5], v[30:31], v[32:33]
	v_pk_add_f32 v[100:101], v[14:15], v[12:13]
	s_mov_b32 s30, 0xbf788fa5
	v_pk_mul_f32 v[128:129], v[104:105], s[18:19] op_sel_hi:[1,0]
	v_mov_b32_e32 v137, v139
	v_pk_fma_f32 v[142:143], v[0:1], s[4:5], v[140:141] op_sel:[1,0,0] neg_lo:[1,0,0] neg_hi:[1,0,0]
	v_pk_fma_f32 v[144:145], v[110:111], s[4:5], v[140:141]
	v_mov_b32_e32 v102, v4
	v_mov_b32_e32 v103, v6
	v_pk_fma_f32 v[130:131], v[100:101], s[30:31], v[128:129] op_sel:[0,0,1] op_sel_hi:[1,0,0] neg_lo:[0,0,1] neg_hi:[0,0,1]
	v_pk_fma_f32 v[128:129], v[100:101], s[30:31], v[128:129] op_sel:[0,0,1] op_sel_hi:[1,0,0]
	v_pk_add_f32 v[136:137], v[136:137], v[8:9]
	v_mov_b32_e32 v143, v145
	s_mov_b32 s31, s18
	v_mov_b32_e32 v116, v7
	v_mov_b32_e32 v117, v5
	v_pk_add_f32 v[136:137], v[142:143], v[136:137]
	s_mov_b32 s19, s30
	v_pk_mul_f32 v[142:143], v[102:103], s[30:31]
	v_pk_fma_f32 v[134:135], v[108:109], s[20:21], v[134:135] neg_lo:[0,0,1] neg_hi:[0,0,1]
	v_pk_fma_f32 v[146:147], v[6:7], s[18:19], v[142:143] op_sel:[1,0,0] neg_lo:[1,0,0] neg_hi:[1,0,0]
	v_pk_fma_f32 v[148:149], v[116:117], s[18:19], v[142:143]
	v_mov_b32_e32 v139, v135
	s_mov_b32 s22, 0xbeedf032
	v_mov_b32_e32 v147, v149
	s_mov_b32 s24, 0x3f29c268
	v_pk_add_f32 v[134:135], v[138:139], v[8:9]
	v_pk_fma_f32 v[138:139], v[110:111], s[4:5], v[140:141] neg_lo:[0,0,1] neg_hi:[0,0,1]
	s_mov_b32 s23, 0x3f62ad3f
	s_mov_b32 s2, 0xbf7e222b
	;; [unrolled: 1-line block ×3, first 2 shown]
	v_pk_add_f32 v[136:137], v[146:147], v[136:137]
	v_pk_mul_f32 v[146:147], v[118:119], s[24:25] op_sel_hi:[1,0]
	v_mov_b32_e32 v145, v139
	v_pk_fma_f32 v[138:139], v[116:117], s[18:19], v[142:143] neg_lo:[0,0,1] neg_hi:[0,0,1]
	s_mov_b32 s50, s23
	s_mov_b32 s51, s22
	;; [unrolled: 1-line block ×3, first 2 shown]
	v_pk_fma_f32 v[150:151], v[112:113], s[40:41], v[146:147] op_sel:[0,0,1] op_sel_hi:[1,0,0] neg_lo:[0,0,1] neg_hi:[0,0,1]
	v_pk_fma_f32 v[146:147], v[112:113], s[40:41], v[146:147] op_sel:[0,0,1] op_sel_hi:[1,0,0]
	v_pk_add_f32 v[134:135], v[144:145], v[134:135]
	v_mov_b32_e32 v149, v139
	v_pk_mul_f32 v[138:139], v[84:85], s[50:51]
	s_mov_b32 s36, s3
	s_mov_b32 s37, s2
	v_mov_b32_e32 v153, v147
	v_pk_add_f32 v[134:135], v[148:149], v[134:135]
	v_mov_b32_e32 v147, v151
	v_pk_fma_f32 v[140:141], v[2:3], s[22:23], v[138:139] op_sel:[1,0,0] neg_lo:[1,0,0] neg_hi:[1,0,0]
	v_pk_fma_f32 v[142:143], v[108:109], s[22:23], v[138:139]
	v_pk_mul_f32 v[144:145], v[86:87], s[38:39]
	v_pk_mul_f32 v[74:75], v[102:103], s[36:37]
	v_pk_add_f32 v[134:135], v[146:147], v[134:135]
	v_pk_fma_f32 v[138:139], v[108:109], s[22:23], v[138:139] neg_lo:[0,0,1] neg_hi:[0,0,1]
	v_pk_fma_f32 v[146:147], v[0:1], s[20:21], v[144:145] op_sel:[1,0,0] neg_lo:[1,0,0] neg_hi:[1,0,0]
	v_pk_fma_f32 v[148:149], v[110:111], s[20:21], v[144:145]
	v_mov_b32_e32 v141, v143
	v_pk_add_f32 v[114:115], v[18:19], v[20:21] neg_lo:[0,1] neg_hi:[0,1]
	v_pk_fma_f32 v[76:77], v[6:7], s[2:3], v[74:75] op_sel:[1,0,0] neg_lo:[1,0,0] neg_hi:[1,0,0]
	v_pk_fma_f32 v[78:79], v[116:117], s[2:3], v[74:75]
	v_mov_b32_e32 v120, v82
	v_mov_b32_e32 v121, v81
	s_mov_b32 s14, 0xbf29c268
	v_mov_b32_e32 v138, v142
	v_pk_fma_f32 v[144:145], v[110:111], s[20:21], v[144:145] neg_lo:[0,0,1] neg_hi:[0,0,1]
	v_mov_b32_e32 v147, v149
	v_pk_fma_f32 v[74:75], v[116:117], s[2:3], v[74:75] neg_lo:[0,0,1] neg_hi:[0,0,1]
	v_mov_b32_e32 v81, v83
	v_pk_add_f32 v[82:83], v[140:141], v[8:9]
	v_pk_add_f32 v[106:107], v[20:21], v[18:19]
	v_mov_b32_e32 v77, v79
	v_pk_mul_f32 v[122:123], v[114:115], s[14:15] op_sel_hi:[1,0]
	v_mov_b32_e32 v144, v148
	v_mov_b32_e32 v79, v75
	v_pk_add_f32 v[74:75], v[138:139], v[8:9]
	v_pk_add_f32 v[82:83], v[146:147], v[82:83]
	v_pk_fma_f32 v[124:125], v[106:107], s[40:41], v[122:123] op_sel:[0,0,1] op_sel_hi:[1,0,0] neg_lo:[0,0,1] neg_hi:[0,0,1]
	v_pk_fma_f32 v[122:123], v[106:107], s[40:41], v[122:123] op_sel:[0,0,1] op_sel_hi:[1,0,0]
	v_pk_add_f32 v[74:75], v[144:145], v[74:75]
	v_pk_add_f32 v[76:77], v[76:77], v[82:83]
	v_mov_b32_e32 v126, v124
	v_mov_b32_e32 v127, v123
	;; [unrolled: 1-line block ×3, first 2 shown]
	s_mov_b32 s26, 0x3f7e222b
	v_pk_add_f32 v[74:75], v[78:79], v[74:75]
	v_pk_add_f32 v[76:77], v[120:121], v[76:77]
	v_mov_b32_e32 v132, v130
	v_mov_b32_e32 v133, v129
	v_pk_add_f32 v[136:137], v[152:153], v[136:137]
	s_mov_b32 s52, s3
	v_pk_mul_f32 v[152:153], v[114:115], s[26:27] op_sel_hi:[1,0]
	v_mov_b32_e32 v123, v125
	v_pk_add_f32 v[74:75], v[80:81], v[74:75]
	v_pk_add_f32 v[76:77], v[126:127], v[76:77]
	s_mov_b32 s34, 0x3eedf032
	v_pk_fma_f32 v[154:155], v[106:107], s[52:53], v[152:153] op_sel:[0,0,1] op_sel_hi:[1,0,0] neg_lo:[0,0,1] neg_hi:[0,0,1]
	v_pk_fma_f32 v[152:153], v[106:107], s[52:53], v[152:153] op_sel:[0,0,1] op_sel_hi:[1,0,0]
	v_mov_b32_e32 v129, v131
	v_pk_add_f32 v[78:79], v[122:123], v[74:75]
	v_pk_add_f32 v[74:75], v[132:133], v[76:77]
	s_mov_b32 s58, s23
	v_pk_mul_f32 v[76:77], v[104:105], s[34:35] op_sel_hi:[1,0]
	v_mov_b32_e32 v157, v153
	v_mov_b32_e32 v153, v155
	v_pk_add_f32 v[210:211], v[128:129], v[78:79]
	v_pk_fma_f32 v[78:79], v[100:101], s[58:59], v[76:77] op_sel:[0,0,1] op_sel_hi:[1,0,0] neg_lo:[0,0,1] neg_hi:[0,0,1]
	v_pk_fma_f32 v[80:81], v[100:101], s[58:59], v[76:77] op_sel:[0,0,1] op_sel_hi:[1,0,0]
	v_pk_add_f32 v[134:135], v[152:153], v[134:135]
	v_mov_b32_e32 v76, v78
	v_mov_b32_e32 v77, v81
	;; [unrolled: 1-line block ×3, first 2 shown]
	v_pk_mul_f32 v[78:79], v[84:85], s[36:37]
	s_mov_b32 s42, 0x3f6f5d39
	v_pk_add_f32 v[218:219], v[80:81], v[134:135]
	v_pk_fma_f32 v[80:81], v[2:3], s[2:3], v[78:79] op_sel:[1,0,0] neg_lo:[1,0,0] neg_hi:[1,0,0]
	v_pk_fma_f32 v[82:83], v[108:109], s[2:3], v[78:79]
	v_pk_mul_f32 v[120:121], v[86:87], s[30:31]
	s_mov_b32 s48, s28
	s_mov_b32 s49, s42
	v_pk_fma_f32 v[78:79], v[108:109], s[2:3], v[78:79] neg_lo:[0,0,1] neg_hi:[0,0,1]
	v_mov_b32_e32 v81, v83
	v_pk_fma_f32 v[122:123], v[0:1], s[18:19], v[120:121] op_sel:[1,0,0] neg_lo:[1,0,0] neg_hi:[1,0,0]
	v_pk_fma_f32 v[124:125], v[110:111], s[18:19], v[120:121]
	s_mov_b32 s43, s28
	v_pk_mul_f32 v[126:127], v[102:103], s[48:49]
	v_mov_b32_e32 v83, v79
	v_pk_fma_f32 v[78:79], v[110:111], s[18:19], v[120:121] neg_lo:[0,0,1] neg_hi:[0,0,1]
	v_mov_b32_e32 v123, v125
	v_pk_fma_f32 v[128:129], v[6:7], s[42:43], v[126:127] op_sel:[1,0,0] neg_lo:[1,0,0] neg_hi:[1,0,0]
	v_pk_fma_f32 v[130:131], v[116:117], s[42:43], v[126:127]
	v_mov_b32_e32 v125, v79
	v_pk_fma_f32 v[78:79], v[116:117], s[42:43], v[126:127] neg_lo:[0,0,1] neg_hi:[0,0,1]
	v_mov_b32_e32 v156, v154
	v_mov_b32_e32 v129, v131
	v_pk_mul_f32 v[132:133], v[118:119], s[34:35] op_sel_hi:[1,0]
	v_mov_b32_e32 v131, v79
	v_pk_add_f32 v[78:79], v[82:83], v[8:9]
	v_pk_add_f32 v[136:137], v[156:157], v[136:137]
	v_pk_fma_f32 v[134:135], v[112:113], s[58:59], v[132:133] op_sel:[0,0,1] op_sel_hi:[1,0,0] neg_lo:[0,0,1] neg_hi:[0,0,1]
	v_pk_fma_f32 v[132:133], v[112:113], s[58:59], v[132:133] op_sel:[0,0,1] op_sel_hi:[1,0,0]
	s_mov_b32 s60, s21
	v_pk_mul_f32 v[138:139], v[114:115], s[20:21] op_sel_hi:[1,0]
	v_pk_add_f32 v[78:79], v[124:125], v[78:79]
	v_pk_add_f32 v[76:77], v[76:77], v[136:137]
	v_mov_b32_e32 v137, v133
	v_pk_fma_f32 v[140:141], v[106:107], s[60:61], v[138:139] op_sel:[0,0,1] op_sel_hi:[1,0,0] neg_lo:[0,0,1] neg_hi:[0,0,1]
	v_pk_fma_f32 v[138:139], v[106:107], s[60:61], v[138:139] op_sel:[0,0,1] op_sel_hi:[1,0,0]
	v_mov_b32_e32 v133, v135
	v_pk_add_f32 v[78:79], v[130:131], v[78:79]
	v_mov_b32_e32 v143, v139
	v_mov_b32_e32 v139, v141
	v_pk_add_f32 v[80:81], v[80:81], v[8:9]
	v_pk_add_f32 v[78:79], v[132:133], v[78:79]
	;; [unrolled: 1-line block ×4, first 2 shown]
	v_pk_mul_f32 v[78:79], v[104:105], s[14:15] op_sel_hi:[1,0]
	v_mov_b32_e32 v136, v134
	v_pk_add_f32 v[80:81], v[128:129], v[80:81]
	v_pk_fma_f32 v[120:121], v[100:101], s[40:41], v[78:79] op_sel:[0,0,1] op_sel_hi:[1,0,0] neg_lo:[0,0,1] neg_hi:[0,0,1]
	v_pk_fma_f32 v[122:123], v[100:101], s[40:41], v[78:79] op_sel:[0,0,1] op_sel_hi:[1,0,0]
	v_pk_mul_f32 v[132:133], v[84:85], s[28:29]
	s_mov_b32 s41, s24
	v_mov_b32_e32 v142, v140
	v_pk_add_f32 v[80:81], v[136:137], v[80:81]
	v_pk_fma_f32 v[2:3], v[2:3], s[4:5], v[132:133] op_sel:[1,0,0] neg_lo:[1,0,0] neg_hi:[1,0,0]
	v_pk_fma_f32 v[134:135], v[108:109], s[4:5], v[132:133]
	s_mov_b32 s25, s40
	v_pk_mul_f32 v[136:137], v[86:87], s[40:41]
	v_pk_add_f32 v[80:81], v[142:143], v[80:81]
	v_mov_b32_e32 v78, v120
	v_mov_b32_e32 v79, v123
	;; [unrolled: 1-line block ×3, first 2 shown]
	v_pk_mul_f32 v[6:7], v[6:7], s[34:35] op_sel:[1,0] op_sel_hi:[0,0]
	v_mov_b32_e32 v3, v135
	v_pk_fma_f32 v[132:133], v[108:109], s[4:5], v[132:133] neg_lo:[0,0,1] neg_hi:[0,0,1]
	v_pk_fma_f32 v[0:1], v[0:1], s[24:25], v[136:137] op_sel:[1,0,0] neg_lo:[1,0,0] neg_hi:[1,0,0]
	v_pk_fma_f32 v[138:139], v[110:111], s[24:25], v[136:137]
	v_pk_add_f32 v[78:79], v[78:79], v[80:81]
	v_pk_add_f32 v[216:217], v[122:123], v[82:83]
	v_pk_fma_f32 v[80:81], v[4:5], s[58:59], v[6:7] op_sel_hi:[1,0,1]
	v_pk_fma_f32 v[4:5], v[4:5], s[58:59], v[6:7] op_sel_hi:[1,0,1] neg_lo:[0,0,1] neg_hi:[0,0,1]
	v_pk_mul_f32 v[82:83], v[118:119], s[2:3] op_sel_hi:[1,0]
	s_mov_b32 s44, 0x3e750f2a
	v_mov_b32_e32 v1, v139
	v_pk_fma_f32 v[136:137], v[110:111], s[24:25], v[136:137] neg_lo:[0,0,1] neg_hi:[0,0,1]
	v_pk_add_f32 v[2:3], v[2:3], v[8:9]
	v_mov_b32_e32 v135, v133
	v_mov_b32_e32 v7, v5
	v_pk_fma_f32 v[120:121], v[112:113], s[52:53], v[82:83] op_sel:[0,0,1] op_sel_hi:[1,0,0]
	v_pk_fma_f32 v[82:83], v[112:113], s[52:53], v[82:83] op_sel:[0,0,1] op_sel_hi:[1,0,0] neg_lo:[0,0,1] neg_hi:[0,0,1]
	v_pk_mul_f32 v[124:125], v[114:115], s[44:45] op_sel_hi:[1,0]
	s_mov_b32 s46, 0x3f52af12
	v_pk_add_f32 v[0:1], v[0:1], v[2:3]
	v_pk_add_f32 v[2:3], v[134:135], v[8:9]
	v_mov_b32_e32 v139, v137
	v_mov_b32_e32 v5, v81
	;; [unrolled: 1-line block ×4, first 2 shown]
	v_pk_fma_f32 v[126:127], v[106:107], s[30:31], v[124:125] op_sel:[0,0,1] op_sel_hi:[1,0,0]
	v_pk_fma_f32 v[124:125], v[106:107], s[30:31], v[124:125] op_sel:[0,0,1] op_sel_hi:[1,0,0] neg_lo:[0,0,1] neg_hi:[0,0,1]
	v_pk_mul_f32 v[130:131], v[104:105], s[46:47] op_sel_hi:[1,0]
	v_pk_add_f32 v[2:3], v[138:139], v[2:3]
	v_pk_add_f32 v[0:1], v[4:5], v[0:1]
	v_mov_b32_e32 v83, v121
	v_mov_b32_e32 v122, v120
	;; [unrolled: 1-line block ×3, first 2 shown]
	v_pk_add_f32 v[2:3], v[6:7], v[2:3]
	v_pk_add_f32 v[0:1], v[82:83], v[0:1]
	v_mov_b32_e32 v125, v127
	v_pk_fma_f32 v[4:5], v[100:101], s[60:61], v[130:131] op_sel:[0,0,1] op_sel_hi:[1,0,0] neg_lo:[0,0,1] neg_hi:[0,0,1]
	v_pk_fma_f32 v[6:7], v[100:101], s[60:61], v[130:131] op_sel:[0,0,1] op_sel_hi:[1,0,0]
	v_mov_b32_e32 v128, v126
	v_pk_add_f32 v[2:3], v[122:123], v[2:3]
	v_pk_add_f32 v[0:1], v[124:125], v[0:1]
	v_mov_b32_e32 v80, v4
	v_mov_b32_e32 v81, v7
	s_mov_b32 s15, s40
	v_pk_add_f32 v[2:3], v[128:129], v[2:3]
	v_pk_add_f32 v[80:81], v[80:81], v[0:1]
	v_mov_b32_e32 v7, v5
	v_pk_mul_f32 v[0:1], v[108:109], s[14:15]
	s_mov_b32 s56, s40
	s_mov_b32 s57, s14
	;; [unrolled: 1-line block ×3, first 2 shown]
	v_pk_add_f32 v[222:223], v[6:7], v[2:3]
	v_pk_fma_f32 v[2:3], v[84:85], s[56:57], v[0:1]
	v_pk_fma_f32 v[4:5], v[84:85], s[56:57], v[0:1] neg_lo:[1,0,0] neg_hi:[1,0,0]
	v_pk_mul_f32 v[82:83], v[110:111], s[26:27]
	s_mov_b32 s54, s3
	s_mov_b32 s55, s26
	v_mov_b32_e32 v4, v2
	v_pk_fma_f32 v[120:121], v[86:87], s[54:55], v[82:83]
	v_pk_fma_f32 v[122:123], v[86:87], s[54:55], v[82:83] neg_lo:[1,0,0] neg_hi:[1,0,0]
	v_pk_mul_f32 v[124:125], v[116:117], s[20:21]
	v_pk_fma_f32 v[0:1], v[84:85], s[56:57], v[0:1] neg_lo:[0,0,1] neg_hi:[0,0,1]
	v_mov_b32_e32 v122, v120
	v_pk_fma_f32 v[126:127], v[102:103], s[38:39], v[124:125]
	v_pk_fma_f32 v[128:129], v[102:103], s[38:39], v[124:125] neg_lo:[1,0,0] neg_hi:[1,0,0]
	v_pk_mul_f32 v[130:131], v[118:119], s[44:45] op_sel_hi:[1,0]
	v_pk_add_f32 v[4:5], v[4:5], v[8:9]
	v_mov_b32_e32 v1, v3
	v_pk_fma_f32 v[2:3], v[86:87], s[54:55], v[82:83] neg_lo:[0,0,1] neg_hi:[0,0,1]
	v_mov_b32_e32 v128, v126
	v_pk_fma_f32 v[132:133], v[112:113], s[30:31], v[130:131] op_sel:[0,0,1] op_sel_hi:[1,0,0]
	v_pk_fma_f32 v[130:131], v[112:113], s[30:31], v[130:131] op_sel:[0,0,1] op_sel_hi:[1,0,0] neg_lo:[0,0,1] neg_hi:[0,0,1]
	v_pk_add_f32 v[4:5], v[122:123], v[4:5]
	v_mov_b32_e32 v3, v121
	v_pk_fma_f32 v[82:83], v[102:103], s[38:39], v[124:125] neg_lo:[0,0,1] neg_hi:[0,0,1]
	v_pk_add_f32 v[0:1], v[0:1], v[8:9]
	v_mov_b32_e32 v134, v132
	v_mov_b32_e32 v135, v131
	v_pk_mul_f32 v[136:137], v[114:115], s[34:35] op_sel_hi:[1,0]
	v_pk_add_f32 v[4:5], v[128:129], v[4:5]
	v_mov_b32_e32 v83, v127
	v_pk_add_f32 v[0:1], v[2:3], v[0:1]
	v_pk_fma_f32 v[138:139], v[106:107], s[58:59], v[136:137] op_sel:[0,0,1] op_sel_hi:[1,0,0] neg_lo:[0,0,1] neg_hi:[0,0,1]
	v_pk_fma_f32 v[136:137], v[106:107], s[58:59], v[136:137] op_sel:[0,0,1] op_sel_hi:[1,0,0]
	v_mov_b32_e32 v131, v133
	v_pk_add_f32 v[0:1], v[82:83], v[0:1]
	v_pk_add_f32 v[2:3], v[134:135], v[4:5]
	v_pk_mul_f32 v[4:5], v[104:105], s[4:5] op_sel_hi:[1,0]
	v_mov_b32_e32 v141, v139
	v_mov_b32_e32 v139, v137
	v_pk_add_f32 v[0:1], v[130:131], v[0:1]
	v_pk_fma_f32 v[120:121], v[100:101], s[28:29], v[4:5] op_sel:[0,0,1] op_sel_hi:[1,0,0] neg_lo:[0,0,1] neg_hi:[0,0,1]
	v_pk_fma_f32 v[4:5], v[100:101], s[28:29], v[4:5] op_sel:[0,0,1] op_sel_hi:[1,0,0]
	v_mov_b32_e32 v140, v136
	v_pk_add_f32 v[0:1], v[138:139], v[0:1]
	v_mov_b32_e32 v82, v120
	v_mov_b32_e32 v83, v5
	v_pk_add_f32 v[2:3], v[140:141], v[2:3]
	v_pk_add_f32 v[82:83], v[82:83], v[0:1]
	v_mov_b32_e32 v5, v121
	v_pk_mul_f32 v[0:1], v[108:109], s[18:19]
	s_mov_b32 s35, s23
	v_pk_add_f32 v[220:221], v[4:5], v[2:3]
	v_pk_fma_f32 v[2:3], v[84:85], s[30:31], v[0:1]
	v_pk_fma_f32 v[108:109], v[84:85], s[30:31], v[0:1] neg_lo:[1,0,0] neg_hi:[1,0,0]
	v_pk_mul_f32 v[110:111], v[110:111], s[34:35]
	s_mov_b32 s59, s34
	v_pk_fma_f32 v[0:1], v[84:85], s[30:31], v[0:1] neg_lo:[0,0,1] neg_hi:[0,0,1]
	v_mov_b32_e32 v108, v2
	v_pk_fma_f32 v[120:121], v[86:87], s[58:59], v[110:111]
	v_pk_mul_f32 v[116:117], v[116:117], s[14:15]
	v_mov_b32_e32 v1, v3
	v_pk_fma_f32 v[2:3], v[86:87], s[58:59], v[110:111] neg_lo:[0,0,1] neg_hi:[0,0,1]
	v_pk_fma_f32 v[124:125], v[102:103], s[56:57], v[116:117]
	v_pk_mul_f32 v[118:119], v[118:119], s[46:47] op_sel_hi:[1,0]
	v_mov_b32_e32 v3, v121
	v_pk_fma_f32 v[84:85], v[102:103], s[56:57], v[116:117] neg_lo:[0,0,1] neg_hi:[0,0,1]
	v_pk_add_f32 v[0:1], v[0:1], v[8:9]
	v_pk_fma_f32 v[128:129], v[112:113], s[60:61], v[118:119] op_sel:[0,0,1] op_sel_hi:[1,0,0]
	v_pk_fma_f32 v[112:113], v[112:113], s[60:61], v[118:119] op_sel:[0,0,1] op_sel_hi:[1,0,0] neg_lo:[0,0,1] neg_hi:[0,0,1]
	v_pk_mul_f32 v[114:115], v[114:115], s[4:5] op_sel_hi:[1,0]
	v_mov_b32_e32 v85, v125
	v_pk_add_f32 v[0:1], v[2:3], v[0:1]
	v_mov_b32_e32 v119, v113
	v_pk_fma_f32 v[130:131], v[106:107], s[28:29], v[114:115] op_sel:[0,0,1] op_sel_hi:[1,0,0] neg_lo:[0,0,1] neg_hi:[0,0,1]
	v_pk_fma_f32 v[106:107], v[106:107], s[28:29], v[114:115] op_sel:[0,0,1] op_sel_hi:[1,0,0]
	v_mov_b32_e32 v113, v129
	v_pk_add_f32 v[0:1], v[84:85], v[0:1]
	v_pk_mul_f32 v[84:85], v[104:105], s[26:27] op_sel_hi:[1,0]
	v_pk_fma_f32 v[126:127], v[102:103], s[56:57], v[116:117] neg_lo:[1,0,0] neg_hi:[1,0,0]
	v_mov_b32_e32 v115, v131
	v_mov_b32_e32 v131, v107
	v_pk_add_f32 v[0:1], v[112:113], v[0:1]
	v_pk_fma_f32 v[102:103], v[100:101], s[52:53], v[84:85] op_sel:[0,0,1] op_sel_hi:[1,0,0] neg_lo:[0,0,1] neg_hi:[0,0,1]
	v_pk_fma_f32 v[84:85], v[100:101], s[52:53], v[84:85] op_sel:[0,0,1] op_sel_hi:[1,0,0]
	v_pk_fma_f32 v[122:123], v[86:87], s[58:59], v[110:111] neg_lo:[1,0,0] neg_hi:[1,0,0]
	v_pk_add_f32 v[0:1], v[130:131], v[0:1]
	v_mov_b32_e32 v86, v102
	v_mov_b32_e32 v87, v85
	v_pk_add_f32 v[98:99], v[24:25], v[26:27]
	v_pk_add_f32 v[86:87], v[86:87], v[0:1]
	v_mul_lo_u16_e32 v0, 13, v158
	v_lshl_add_u32 v209, v0, 3, v208
	v_pk_add_f32 v[0:1], v[98:99], v[52:53]
	v_mov_b32_e32 v122, v120
	v_pk_add_f32 v[0:1], v[0:1], v[54:55]
	v_mov_b32_e32 v114, v106
	v_pk_add_f32 v[0:1], v[0:1], v[48:49]
	v_pk_add_f32 v[106:107], v[108:109], v[8:9]
	;; [unrolled: 1-line block ×3, first 2 shown]
	v_mov_b32_e32 v126, v124
	v_pk_add_f32 v[106:107], v[122:123], v[106:107]
	v_pk_add_f32 v[0:1], v[0:1], v[44:45]
	v_mov_b32_e32 v118, v128
	v_pk_add_f32 v[106:107], v[126:127], v[106:107]
	v_pk_add_f32 v[0:1], v[0:1], v[46:47]
	;; [unrolled: 1-line block ×5, first 2 shown]
	v_pk_add_f32 v[96:97], v[26:27], v[68:69] neg_lo:[0,1] neg_hi:[0,1]
	v_pk_add_f32 v[2:3], v[114:115], v[2:3]
	v_mov_b32_e32 v85, v103
	v_pk_add_f32 v[0:1], v[0:1], v[42:43]
	v_pk_add_f32 v[84:85], v[84:85], v[2:3]
	v_pk_add_f32 v[0:1], v[0:1], v[36:37]
	v_mov_b32_e32 v3, v67
	v_mov_b32_e32 v67, v96
	v_pk_add_f32 v[62:63], v[36:37], v[54:55]
	v_pk_add_f32 v[92:93], v[54:55], v[36:37] neg_lo:[0,1] neg_hi:[0,1]
	v_pk_add_f32 v[0:1], v[0:1], v[38:39]
	v_mov_b32_e32 v2, v97
	v_pk_mul_f32 v[36:37], v[66:67], s[50:51]
	v_pk_add_f32 v[64:65], v[38:39], v[52:53]
	v_pk_add_f32 v[94:95], v[52:53], v[38:39] neg_lo:[0,1] neg_hi:[0,1]
	v_pk_add_f32 v[98:99], v[0:1], v[68:69]
	v_pk_fma_f32 v[38:39], v[2:3], s[22:23], v[36:37] neg_lo:[1,0,0] neg_hi:[1,0,0]
	v_pk_fma_f32 v[0:1], v[2:3], s[22:23], v[36:37]
	v_pk_add_f32 v[26:27], v[46:47], v[44:45]
	v_mov_b32_e32 v39, v1
	v_pk_add_f32 v[70:71], v[44:45], v[46:47] neg_lo:[0,1] neg_hi:[0,1]
	v_pk_add_f32 v[44:45], v[24:25], v[38:39]
	v_mov_b32_e32 v39, v65
	v_mov_b32_e32 v65, v94
	v_pk_add_f32 v[60:61], v[42:43], v[48:49]
	v_pk_add_f32 v[90:91], v[48:49], v[42:43] neg_lo:[0,1] neg_hi:[0,1]
	v_mov_b32_e32 v38, v95
	v_pk_mul_f32 v[42:43], v[64:65], s[38:39]
	v_pk_add_f32 v[58:59], v[40:41], v[50:51]
	v_pk_add_f32 v[88:89], v[50:51], v[40:41] neg_lo:[0,1] neg_hi:[0,1]
	v_pk_fma_f32 v[46:47], v[38:39], s[20:21], v[42:43] neg_lo:[1,0,0] neg_hi:[1,0,0]
	v_pk_fma_f32 v[40:41], v[38:39], s[20:21], v[42:43]
	s_nop 0
	v_mov_b32_e32 v47, v41
	v_pk_add_f32 v[50:51], v[46:47], v[44:45]
	v_mov_b32_e32 v45, v63
	v_mov_b32_e32 v63, v92
	;; [unrolled: 1-line block ×3, first 2 shown]
	v_pk_mul_f32 v[48:49], v[62:63], s[36:37]
	s_barrier
	v_pk_fma_f32 v[52:53], v[44:45], s[2:3], v[48:49] neg_lo:[1,0,0] neg_hi:[1,0,0]
	v_pk_fma_f32 v[46:47], v[44:45], s[2:3], v[48:49]
	s_nop 0
	v_mov_b32_e32 v53, v47
	v_pk_add_f32 v[68:69], v[52:53], v[50:51]
	v_mov_b32_e32 v51, v61
	v_mov_b32_e32 v61, v90
	v_mov_b32_e32 v50, v91
	v_pk_mul_f32 v[54:55], v[60:61], s[28:29]
	v_pk_mul_f32 v[102:103], v[64:65], s[28:29]
	v_pk_fma_f32 v[90:91], v[50:51], s[4:5], v[54:55] neg_lo:[1,0,0] neg_hi:[1,0,0]
	v_pk_fma_f32 v[52:53], v[50:51], s[4:5], v[54:55]
	v_pk_fma_f32 v[106:107], v[38:39], s[4:5], v[102:103] neg_lo:[1,0,0] neg_hi:[1,0,0]
	v_mov_b32_e32 v91, v53
	v_pk_add_f32 v[92:93], v[90:91], v[68:69]
	v_mov_b32_e32 v69, v59
	v_mov_b32_e32 v59, v88
	;; [unrolled: 1-line block ×3, first 2 shown]
	v_pk_mul_f32 v[90:91], v[58:59], s[56:57]
	v_pk_mul_f32 v[124:125], v[66:67], s[36:37]
	v_pk_fma_f32 v[94:95], v[68:69], s[14:15], v[90:91] neg_lo:[1,0,0] neg_hi:[1,0,0]
	v_pk_fma_f32 v[88:89], v[68:69], s[14:15], v[90:91]
	v_pk_mul_f32 v[126:127], v[64:65], s[30:31]
	v_mov_b32_e32 v95, v89
	v_pk_add_f32 v[96:97], v[94:95], v[92:93]
	v_mov_b32_e32 v93, v27
	v_mov_b32_e32 v27, v70
	v_mov_b32_e32 v92, v71
	v_pk_mul_f32 v[94:95], v[26:27], s[30:31]
	v_pk_fma_f32 v[130:131], v[38:39], s[18:19], v[126:127] neg_lo:[1,0,0] neg_hi:[1,0,0]
	v_pk_fma_f32 v[100:101], v[92:93], s[18:19], v[94:95] neg_lo:[1,0,0] neg_hi:[1,0,0]
	v_pk_fma_f32 v[70:71], v[92:93], s[18:19], v[94:95]
	v_pk_mul_f32 v[150:151], v[64:65], s[40:41]
	v_mov_b32_e32 v101, v71
	v_pk_add_f32 v[96:97], v[100:101], v[96:97]
	v_pk_mul_f32 v[100:101], v[66:67], s[38:39]
	ds_write2_b64 v209, v[98:99], v[96:97] offset1:1
	v_pk_fma_f32 v[96:97], v[2:3], s[20:21], v[100:101] neg_lo:[1,0,0] neg_hi:[1,0,0]
	v_pk_fma_f32 v[98:99], v[2:3], s[20:21], v[100:101]
	v_pk_fma_f32 v[152:153], v[38:39], s[24:25], v[150:151] neg_lo:[1,0,0] neg_hi:[1,0,0]
	v_mov_b32_e32 v97, v99
	v_pk_add_f32 v[104:105], v[24:25], v[96:97]
	v_pk_fma_f32 v[96:97], v[38:39], s[4:5], v[102:103]
	v_pk_fma_f32 v[154:155], v[38:39], s[24:25], v[150:151]
	v_mov_b32_e32 v107, v97
	v_pk_add_f32 v[108:109], v[106:107], v[104:105]
	v_pk_mul_f32 v[106:107], v[62:63], s[30:31]
	v_mov_b32_e32 v153, v155
	v_pk_fma_f32 v[110:111], v[44:45], s[18:19], v[106:107] neg_lo:[1,0,0] neg_hi:[1,0,0]
	v_pk_fma_f32 v[104:105], v[44:45], s[18:19], v[106:107]
	v_accvgpr_write_b32 a12, v158
	v_mov_b32_e32 v111, v105
	v_pk_add_f32 v[112:113], v[110:111], v[108:109]
	v_pk_mul_f32 v[110:111], v[60:61], s[40:41]
	v_accvgpr_write_b32 a13, v159
	v_pk_fma_f32 v[114:115], v[50:51], s[24:25], v[110:111] neg_lo:[1,0,0] neg_hi:[1,0,0]
	v_pk_fma_f32 v[108:109], v[50:51], s[24:25], v[110:111]
	s_mov_b32 s45, s30
	v_mov_b32_e32 v115, v109
	v_pk_add_f32 v[116:117], v[114:115], v[112:113]
	v_pk_mul_f32 v[114:115], v[58:59], s[54:55]
	s_mov_b32 s40, s21
	v_pk_fma_f32 v[118:119], v[68:69], s[26:27], v[114:115] neg_lo:[1,0,0] neg_hi:[1,0,0]
	v_pk_fma_f32 v[112:113], v[68:69], s[26:27], v[114:115]
	s_mov_b32 s41, s46
	v_mov_b32_e32 v119, v113
	v_pk_add_f32 v[120:121], v[118:119], v[116:117]
	v_pk_mul_f32 v[118:119], v[26:27], s[58:59]
	s_mov_b32 s47, s21
	v_pk_fma_f32 v[122:123], v[92:93], s[34:35], v[118:119] neg_lo:[1,0,0] neg_hi:[1,0,0]
	v_pk_fma_f32 v[116:117], v[92:93], s[34:35], v[118:119]
	v_pk_mul_f32 v[176:177], v[64:65], s[54:55]
	v_mov_b32_e32 v123, v117
	v_pk_add_f32 v[144:145], v[122:123], v[120:121]
	v_pk_fma_f32 v[120:121], v[2:3], s[2:3], v[124:125] neg_lo:[1,0,0] neg_hi:[1,0,0]
	v_pk_fma_f32 v[122:123], v[2:3], s[2:3], v[124:125]
	v_pk_fma_f32 v[178:179], v[38:39], s[26:27], v[176:177] neg_lo:[1,0,0] neg_hi:[1,0,0]
	v_mov_b32_e32 v121, v123
	v_pk_add_f32 v[128:129], v[24:25], v[120:121]
	v_pk_fma_f32 v[120:121], v[38:39], s[18:19], v[126:127]
	v_pk_fma_f32 v[180:181], v[38:39], s[26:27], v[176:177]
	v_mov_b32_e32 v131, v121
	v_pk_add_f32 v[132:133], v[130:131], v[128:129]
	v_pk_mul_f32 v[130:131], v[62:63], s[48:49]
	v_mov_b32_e32 v179, v181
	v_pk_fma_f32 v[134:135], v[44:45], s[42:43], v[130:131] neg_lo:[1,0,0] neg_hi:[1,0,0]
	v_pk_fma_f32 v[128:129], v[44:45], s[42:43], v[130:131]
	v_pk_mul_f32 v[64:65], v[64:65], s[58:59]
	v_mov_b32_e32 v135, v129
	v_pk_add_f32 v[136:137], v[134:135], v[132:133]
	v_pk_mul_f32 v[134:135], v[60:61], s[58:59]
	v_pk_fma_f32 v[198:199], v[38:39], s[34:35], v[64:65]
	v_pk_fma_f32 v[138:139], v[50:51], s[34:35], v[134:135] neg_lo:[1,0,0] neg_hi:[1,0,0]
	v_pk_fma_f32 v[132:133], v[50:51], s[34:35], v[134:135]
	s_load_dwordx2 s[0:1], s[0:1], 0x8
	v_mov_b32_e32 v139, v133
	v_pk_add_f32 v[140:141], v[138:139], v[136:137]
	v_pk_mul_f32 v[138:139], v[58:59], s[38:39]
	s_nop 0
	v_pk_fma_f32 v[142:143], v[68:69], s[20:21], v[138:139] neg_lo:[1,0,0] neg_hi:[1,0,0]
	v_pk_fma_f32 v[136:137], v[68:69], s[20:21], v[138:139]
	s_nop 0
	v_mov_b32_e32 v143, v137
	v_pk_add_f32 v[146:147], v[142:143], v[140:141]
	v_pk_mul_f32 v[142:143], v[26:27], s[56:57]
	s_nop 0
	v_pk_fma_f32 v[148:149], v[92:93], s[14:15], v[142:143] neg_lo:[1,0,0] neg_hi:[1,0,0]
	v_pk_fma_f32 v[140:141], v[92:93], s[14:15], v[142:143]
	s_nop 0
	v_mov_b32_e32 v149, v141
	v_pk_add_f32 v[146:147], v[148:149], v[146:147]
	ds_write2_b64 v209, v[144:145], v[146:147] offset0:2 offset1:3
	v_pk_mul_f32 v[144:145], v[66:67], s[28:29]
	s_nop 0
	v_pk_fma_f32 v[146:147], v[2:3], s[4:5], v[144:145] neg_lo:[1,0,0] neg_hi:[1,0,0]
	v_pk_fma_f32 v[148:149], v[2:3], s[4:5], v[144:145]
	s_nop 0
	v_mov_b32_e32 v147, v149
	v_pk_add_f32 v[146:147], v[24:25], v[146:147]
	s_nop 0
	v_pk_add_f32 v[146:147], v[152:153], v[146:147]
	v_pk_mul_f32 v[152:153], v[62:63], s[58:59]
	s_nop 0
	v_pk_fma_f32 v[156:157], v[44:45], s[34:35], v[152:153] neg_lo:[1,0,0] neg_hi:[1,0,0]
	v_pk_fma_f32 v[158:159], v[44:45], s[34:35], v[152:153]
	s_nop 0
	v_mov_b32_e32 v157, v159
	v_pk_add_f32 v[146:147], v[156:157], v[146:147]
	v_pk_mul_f32 v[156:157], v[60:61], s[36:37]
	s_mov_b32 s36, s30
	v_pk_fma_f32 v[160:161], v[50:51], s[2:3], v[156:157] neg_lo:[1,0,0] neg_hi:[1,0,0]
	v_pk_fma_f32 v[162:163], v[50:51], s[2:3], v[156:157]
	s_mov_b32 s37, s44
	v_mov_b32_e32 v161, v163
	v_pk_add_f32 v[146:147], v[160:161], v[146:147]
	v_pk_mul_f32 v[160:161], v[58:59], s[36:37]
	s_nop 0
	v_pk_fma_f32 v[164:165], v[68:69], s[44:45], v[160:161] neg_lo:[1,0,0] neg_hi:[1,0,0]
	v_pk_fma_f32 v[166:167], v[68:69], s[44:45], v[160:161]
	s_nop 0
	v_mov_b32_e32 v165, v167
	v_pk_add_f32 v[146:147], v[164:165], v[146:147]
	v_pk_mul_f32 v[164:165], v[26:27], s[40:41]
	s_nop 0
	v_pk_fma_f32 v[168:169], v[92:93], s[46:47], v[164:165] neg_lo:[1,0,0] neg_hi:[1,0,0]
	v_pk_fma_f32 v[170:171], v[92:93], s[46:47], v[164:165]
	s_nop 0
	v_mov_b32_e32 v169, v171
	v_pk_add_f32 v[146:147], v[168:169], v[146:147]
	v_pk_mul_f32 v[168:169], v[66:67], s[56:57]
	v_pk_mul_f32 v[66:67], v[66:67], s[30:31]
	v_pk_fma_f32 v[172:173], v[2:3], s[14:15], v[168:169] neg_lo:[1,0,0] neg_hi:[1,0,0]
	v_pk_fma_f32 v[174:175], v[2:3], s[14:15], v[168:169]
	s_nop 0
	v_mov_b32_e32 v173, v175
	v_pk_add_f32 v[172:173], v[24:25], v[172:173]
	s_nop 0
	v_pk_add_f32 v[172:173], v[178:179], v[172:173]
	v_pk_mul_f32 v[178:179], v[62:63], s[38:39]
	v_pk_mul_f32 v[62:63], v[62:63], s[56:57]
	v_pk_fma_f32 v[182:183], v[44:45], s[20:21], v[178:179] neg_lo:[1,0,0] neg_hi:[1,0,0]
	v_pk_fma_f32 v[184:185], v[44:45], s[20:21], v[178:179]
	v_pk_fma_f32 v[200:201], v[44:45], s[14:15], v[62:63]
	v_mov_b32_e32 v183, v185
	v_pk_add_f32 v[172:173], v[182:183], v[172:173]
	v_pk_mul_f32 v[182:183], v[60:61], s[36:37]
	v_pk_mul_f32 v[60:61], v[60:61], s[40:41]
	v_pk_fma_f32 v[186:187], v[50:51], s[44:45], v[182:183] neg_lo:[1,0,0] neg_hi:[1,0,0]
	v_pk_fma_f32 v[188:189], v[50:51], s[44:45], v[182:183]
	v_pk_fma_f32 v[202:203], v[50:51], s[46:47], v[60:61]
	v_mov_b32_e32 v187, v189
	;; [unrolled: 7-line block ×4, first 2 shown]
	v_pk_add_f32 v[172:173], v[194:195], v[172:173]
	ds_write2_b64 v209, v[146:147], v[172:173] offset0:4 offset1:5
	v_pk_fma_f32 v[146:147], v[2:3], s[18:19], v[66:67] neg_lo:[1,0,0] neg_hi:[1,0,0]
	v_pk_fma_f32 v[172:173], v[2:3], s[18:19], v[66:67]
	v_pk_fma_f32 v[194:195], v[38:39], s[34:35], v[64:65] neg_lo:[1,0,0] neg_hi:[1,0,0]
	v_mov_b32_e32 v147, v173
	v_pk_add_f32 v[146:147], v[24:25], v[146:147]
	v_mov_b32_e32 v195, v199
	v_pk_add_f32 v[146:147], v[194:195], v[146:147]
	v_pk_fma_f32 v[194:195], v[44:45], s[14:15], v[62:63] neg_lo:[1,0,0] neg_hi:[1,0,0]
	v_pk_fma_f32 v[66:67], v[2:3], s[18:19], v[66:67] neg_lo:[0,0,1] neg_hi:[0,0,1]
	v_mov_b32_e32 v195, v201
	v_pk_add_f32 v[146:147], v[194:195], v[146:147]
	v_pk_fma_f32 v[194:195], v[50:51], s[46:47], v[60:61] neg_lo:[1,0,0] neg_hi:[1,0,0]
	v_mov_b32_e32 v173, v67
	v_pk_fma_f32 v[64:65], v[38:39], s[34:35], v[64:65] neg_lo:[0,0,1] neg_hi:[0,0,1]
	v_mov_b32_e32 v195, v203
	v_pk_add_f32 v[66:67], v[24:25], v[172:173]
	v_mov_b32_e32 v199, v65
	v_pk_fma_f32 v[62:63], v[44:45], s[14:15], v[62:63] neg_lo:[0,0,1] neg_hi:[0,0,1]
	v_pk_add_f32 v[146:147], v[194:195], v[146:147]
	v_pk_fma_f32 v[194:195], v[68:69], s[4:5], v[58:59] neg_lo:[1,0,0] neg_hi:[1,0,0]
	v_pk_add_f32 v[64:65], v[198:199], v[66:67]
	v_mov_b32_e32 v201, v63
	v_pk_fma_f32 v[60:61], v[50:51], s[46:47], v[60:61] neg_lo:[0,0,1] neg_hi:[0,0,1]
	v_mov_b32_e32 v195, v205
	v_pk_add_f32 v[62:63], v[200:201], v[64:65]
	v_mov_b32_e32 v203, v61
	v_pk_fma_f32 v[58:59], v[68:69], s[4:5], v[58:59] neg_lo:[0,0,1] neg_hi:[0,0,1]
	v_pk_add_f32 v[146:147], v[194:195], v[146:147]
	v_pk_fma_f32 v[194:195], v[92:93], s[26:27], v[26:27] neg_lo:[1,0,0] neg_hi:[1,0,0]
	v_pk_add_f32 v[60:61], v[202:203], v[62:63]
	v_mov_b32_e32 v205, v59
	v_pk_fma_f32 v[26:27], v[92:93], s[26:27], v[26:27] neg_lo:[0,0,1] neg_hi:[0,0,1]
	v_mov_b32_e32 v195, v207
	v_pk_add_f32 v[58:59], v[204:205], v[60:61]
	v_mov_b32_e32 v207, v27
	v_pk_add_f32 v[26:27], v[206:207], v[58:59]
	v_pk_fma_f32 v[58:59], v[38:39], s[26:27], v[176:177] neg_lo:[0,0,1] neg_hi:[0,0,1]
	v_pk_add_f32 v[146:147], v[194:195], v[146:147]
	v_mov_b32_e32 v181, v59
	v_pk_fma_f32 v[58:59], v[44:45], s[20:21], v[178:179] neg_lo:[0,0,1] neg_hi:[0,0,1]
	ds_write2_b64 v209, v[146:147], v[26:27] offset0:6 offset1:7
	v_mov_b32_e32 v185, v59
	v_pk_fma_f32 v[58:59], v[50:51], s[44:45], v[182:183] neg_lo:[0,0,1] neg_hi:[0,0,1]
	v_pk_fma_f32 v[26:27], v[2:3], s[14:15], v[168:169] neg_lo:[0,0,1] neg_hi:[0,0,1]
	v_mov_b32_e32 v189, v59
	v_pk_fma_f32 v[58:59], v[68:69], s[34:35], v[186:187] neg_lo:[0,0,1] neg_hi:[0,0,1]
	v_mov_b32_e32 v175, v27
	v_mov_b32_e32 v193, v59
	v_pk_fma_f32 v[58:59], v[92:93], s[4:5], v[190:191] neg_lo:[0,0,1] neg_hi:[0,0,1]
	v_pk_fma_f32 v[60:61], v[38:39], s[24:25], v[150:151] neg_lo:[0,0,1] neg_hi:[0,0,1]
	v_mov_b32_e32 v197, v59
	v_pk_fma_f32 v[58:59], v[2:3], s[4:5], v[144:145] neg_lo:[0,0,1] neg_hi:[0,0,1]
	v_pk_add_f32 v[26:27], v[24:25], v[174:175]
	v_mov_b32_e32 v149, v59
	v_pk_add_f32 v[58:59], v[24:25], v[148:149]
	v_mov_b32_e32 v155, v61
	v_pk_fma_f32 v[60:61], v[44:45], s[34:35], v[152:153] neg_lo:[0,0,1] neg_hi:[0,0,1]
	v_pk_add_f32 v[26:27], v[180:181], v[26:27]
	v_pk_add_f32 v[58:59], v[154:155], v[58:59]
	v_mov_b32_e32 v159, v61
	v_pk_fma_f32 v[60:61], v[50:51], s[2:3], v[156:157] neg_lo:[0,0,1] neg_hi:[0,0,1]
	v_pk_add_f32 v[26:27], v[184:185], v[26:27]
	v_pk_add_f32 v[58:59], v[158:159], v[58:59]
	v_mov_b32_e32 v163, v61
	v_pk_fma_f32 v[60:61], v[68:69], s[44:45], v[160:161] neg_lo:[0,0,1] neg_hi:[0,0,1]
	v_pk_add_f32 v[26:27], v[188:189], v[26:27]
	v_pk_add_f32 v[58:59], v[162:163], v[58:59]
	v_mov_b32_e32 v167, v61
	v_pk_fma_f32 v[60:61], v[92:93], s[46:47], v[164:165] neg_lo:[0,0,1] neg_hi:[0,0,1]
	v_pk_add_f32 v[26:27], v[192:193], v[26:27]
	v_pk_add_f32 v[58:59], v[166:167], v[58:59]
	v_mov_b32_e32 v171, v61
	v_pk_add_f32 v[26:27], v[196:197], v[26:27]
	v_pk_add_f32 v[58:59], v[170:171], v[58:59]
	ds_write2_b64 v209, v[26:27], v[58:59] offset0:8 offset1:9
	v_pk_fma_f32 v[58:59], v[38:39], s[18:19], v[126:127] neg_lo:[0,0,1] neg_hi:[0,0,1]
	v_pk_fma_f32 v[26:27], v[2:3], s[2:3], v[124:125] neg_lo:[0,0,1] neg_hi:[0,0,1]
	v_mov_b32_e32 v121, v59
	v_pk_fma_f32 v[58:59], v[44:45], s[42:43], v[130:131] neg_lo:[0,0,1] neg_hi:[0,0,1]
	v_mov_b32_e32 v123, v27
	v_mov_b32_e32 v129, v59
	v_pk_fma_f32 v[58:59], v[50:51], s[34:35], v[134:135] neg_lo:[0,0,1] neg_hi:[0,0,1]
	v_pk_fma_f32 v[60:61], v[38:39], s[4:5], v[102:103] neg_lo:[0,0,1] neg_hi:[0,0,1]
	v_mov_b32_e32 v133, v59
	v_pk_fma_f32 v[58:59], v[68:69], s[20:21], v[138:139] neg_lo:[0,0,1] neg_hi:[0,0,1]
	v_pk_add_f32 v[26:27], v[24:25], v[122:123]
	v_mov_b32_e32 v137, v59
	v_pk_fma_f32 v[58:59], v[92:93], s[14:15], v[142:143] neg_lo:[0,0,1] neg_hi:[0,0,1]
	v_mov_b32_e32 v97, v61
	v_mov_b32_e32 v141, v59
	v_pk_fma_f32 v[58:59], v[2:3], s[20:21], v[100:101] neg_lo:[0,0,1] neg_hi:[0,0,1]
	v_pk_fma_f32 v[2:3], v[2:3], s[22:23], v[36:37] neg_lo:[0,0,1] neg_hi:[0,0,1]
	v_mov_b32_e32 v99, v59
	v_mov_b32_e32 v1, v3
	v_pk_fma_f32 v[2:3], v[38:39], s[20:21], v[42:43] neg_lo:[0,0,1] neg_hi:[0,0,1]
	v_pk_add_f32 v[0:1], v[24:25], v[0:1]
	v_mov_b32_e32 v41, v3
	v_pk_fma_f32 v[2:3], v[44:45], s[2:3], v[48:49] neg_lo:[0,0,1] neg_hi:[0,0,1]
	v_pk_add_f32 v[0:1], v[40:41], v[0:1]
	;; [unrolled: 3-line block ×3, first 2 shown]
	v_pk_fma_f32 v[60:61], v[44:45], s[18:19], v[106:107] neg_lo:[0,0,1] neg_hi:[0,0,1]
	v_pk_add_f32 v[0:1], v[46:47], v[0:1]
	v_mov_b32_e32 v53, v3
	v_pk_fma_f32 v[2:3], v[68:69], s[14:15], v[90:91] neg_lo:[0,0,1] neg_hi:[0,0,1]
	v_pk_add_f32 v[26:27], v[120:121], v[26:27]
	v_pk_add_f32 v[58:59], v[96:97], v[58:59]
	v_mov_b32_e32 v105, v61
	v_pk_fma_f32 v[60:61], v[50:51], s[24:25], v[110:111] neg_lo:[0,0,1] neg_hi:[0,0,1]
	v_pk_add_f32 v[0:1], v[52:53], v[0:1]
	v_mov_b32_e32 v89, v3
	v_pk_fma_f32 v[2:3], v[92:93], s[18:19], v[94:95] neg_lo:[0,0,1] neg_hi:[0,0,1]
	v_pk_add_f32 v[26:27], v[128:129], v[26:27]
	v_pk_add_f32 v[58:59], v[104:105], v[58:59]
	v_mov_b32_e32 v109, v61
	v_pk_fma_f32 v[60:61], v[68:69], s[26:27], v[114:115] neg_lo:[0,0,1] neg_hi:[0,0,1]
	v_pk_add_f32 v[0:1], v[88:89], v[0:1]
	v_mov_b32_e32 v71, v3
	v_pk_add_f32 v[26:27], v[132:133], v[26:27]
	v_pk_add_f32 v[58:59], v[108:109], v[58:59]
	v_mov_b32_e32 v113, v61
	v_pk_fma_f32 v[60:61], v[92:93], s[34:35], v[118:119] neg_lo:[0,0,1] neg_hi:[0,0,1]
	v_pk_add_f32 v[0:1], v[70:71], v[0:1]
	v_pk_add_f32 v[26:27], v[136:137], v[26:27]
	;; [unrolled: 1-line block ×3, first 2 shown]
	v_mov_b32_e32 v117, v61
	ds_write_b64 v209, v[0:1] offset:96
	v_mul_u32_u24_e32 v0, 13, v72
	v_pk_add_f32 v[26:27], v[140:141], v[26:27]
	v_pk_add_f32 v[58:59], v[116:117], v[58:59]
	v_accvgpr_write_b32 a35, v0
	ds_write2_b64 v209, v[26:27], v[58:59] offset0:10 offset1:11
	s_and_saveexec_b64 s[2:3], s[6:7]
	s_cbranch_execz .LBB0_7
; %bb.6:
	v_pk_add_f32 v[0:1], v[10:11], v[8:9]
	v_accvgpr_read_b32 v2, a35
	v_pk_add_f32 v[0:1], v[28:29], v[0:1]
	v_lshl_add_u32 v2, v2, 3, v208
	v_pk_add_f32 v[0:1], v[30:31], v[0:1]
	s_nop 0
	v_pk_add_f32 v[0:1], v[16:17], v[0:1]
	s_nop 0
	;; [unrolled: 2-line block ×9, first 2 shown]
	v_pk_add_f32 v[0:1], v[56:57], v[0:1]
	ds_write2_b64 v2, v[0:1], v[74:75] offset1:1
	ds_write2_b64 v2, v[76:77], v[78:79] offset0:2 offset1:3
	ds_write2_b64 v2, v[80:81], v[82:83] offset0:4 offset1:5
	;; [unrolled: 1-line block ×5, first 2 shown]
	ds_write_b64 v2, v[210:211] offset:96
.LBB0_7:
	s_or_b64 exec, exec, s[2:3]
	v_add_u32_e32 v1, 0x1800, v214
	s_waitcnt lgkmcnt(0)
	s_barrier
	v_add_u32_e32 v0, 0x800, v214
	ds_read2_b64 v[64:67], v1 offset0:12 offset1:103
	v_add_u32_e32 v1, 0x1c00, v214
	ds_read2_b64 v[60:63], v0 offset0:134 offset1:225
	;; [unrolled: 2-line block ×3, first 2 shown]
	v_add_u32_e32 v1, 0x400, v214
	v_add_u32_e32 v2, 0x2000, v214
	ds_read2_b64 v[28:31], v214 offset1:91
	ds_read2_b64 v[32:35], v0 offset0:73 offset1:164
	ds_read2_b64 v[68:71], v1 offset0:67 offset1:158
	;; [unrolled: 1-line block ×3, first 2 shown]
	v_accvgpr_read_b32 v137, a13
	v_accvgpr_read_b32 v136, a12
	v_cmp_lt_u16_e64 s[4:5], 12, v136
	v_cmp_gt_u16_e64 s[2:3], 13, v136
	s_and_saveexec_b64 s[14:15], s[2:3]
	s_cbranch_execz .LBB0_9
; %bb.8:
	ds_read2_b64 v[8:11], v0 offset0:60 offset1:255
	ds_read2_b64 v[0:3], v1 offset0:54 offset1:249
	v_add_u32_e32 v4, 0x1e00, v214
	ds_read_b64 v[84:85], v214 offset:10816
	ds_read2_b64 v[12:15], v4 offset0:2 offset1:197
	s_waitcnt lgkmcnt(3)
	v_mov_b32_e32 v80, v10
	v_mov_b32_e32 v81, v11
	;; [unrolled: 1-line block ×4, first 2 shown]
	s_waitcnt lgkmcnt(2)
	v_mov_b32_e32 v76, v2
	v_mov_b32_e32 v77, v3
	s_waitcnt lgkmcnt(0)
	v_mov_b64_e32 v[86:87], v[14:15]
	v_mov_b64_e32 v[82:83], v[12:13]
	;; [unrolled: 1-line block ×3, first 2 shown]
.LBB0_9:
	s_or_b64 exec, exec, s[14:15]
	s_movk_i32 s14, 0x4f
	v_mul_lo_u16_sdwa v0, v136, s14 dst_sel:DWORD dst_unused:UNUSED_PAD src0_sel:BYTE_0 src1_sel:DWORD
	v_mul_lo_u16_sdwa v2, v72, s14 dst_sel:DWORD dst_unused:UNUSED_PAD src0_sel:BYTE_0 src1_sel:DWORD
	v_lshrrev_b16_e32 v4, 10, v0
	v_lshrrev_b16_e32 v6, 10, v2
	v_mul_lo_u16_e32 v0, 13, v4
	v_mul_lo_u16_e32 v2, 13, v6
	v_sub_u16_e32 v5, v136, v0
	v_mov_b32_e32 v0, 6
	v_sub_u16_e32 v7, v72, v2
	v_mul_u32_u24_sdwa v1, v5, v0 dst_sel:DWORD dst_unused:UNUSED_PAD src0_sel:BYTE_0 src1_sel:DWORD
	v_mul_u32_u24_sdwa v0, v7, v0 dst_sel:DWORD dst_unused:UNUSED_PAD src0_sel:BYTE_0 src1_sel:DWORD
	s_mov_b64 s[14:15], 0xb6
	v_lshlrev_b32_e32 v1, 3, v1
	v_lshlrev_b32_e32 v0, 3, v0
	v_lshl_add_u64 v[92:93], v[136:137], 0, s[14:15]
	s_movk_i32 s14, 0x4ec5
	global_load_dwordx4 v[44:47], v1, s[0:1] offset:16
	global_load_dwordx4 v[36:39], v1, s[0:1]
	global_load_dwordx4 v[20:23], v0, s[0:1] offset:32
	global_load_dwordx4 v[52:55], v0, s[0:1] offset:16
	global_load_dwordx4 v[40:43], v1, s[0:1] offset:32
	global_load_dwordx4 v[24:27], v0, s[0:1]
	v_mul_u32_u24_sdwa v0, v92, s14 dst_sel:DWORD dst_unused:UNUSED_PAD src0_sel:WORD_0 src1_sel:DWORD
	v_lshrrev_b32_e32 v0, 18, v0
	v_mul_lo_u16_e32 v0, 13, v0
	v_sub_u16_e32 v73, v92, v0
	v_mul_lo_u16_e32 v0, 6, v73
	v_lshlrev_b32_e32 v0, 3, v0
	global_load_dwordx4 v[12:15], v0, s[0:1]
	global_load_dwordx4 v[8:11], v0, s[0:1] offset:16
	global_load_dwordx4 v[16:19], v0, s[0:1] offset:32
	v_mov_b32_e32 v0, v77
	v_mov_b32_e32 v88, v79
	v_mov_b32_e32 v90, v81
	v_mov_b32_e32 v96, v85
	s_mov_b32 s24, 0x3d64c772
	s_mov_b32 s30, 0xbf08b237
	s_mov_b32 s26, 0x3f4a47b2
	s_mov_b32 s22, 0x3f955555
	s_mov_b32 s18, 0x3f3bfb3b
	s_mov_b32 s20, 0x3f5ff5aa
	s_mov_b32 s28, 0x3eae86e6
	s_mov_b32 s14, 0x3ee1c552
	v_mul_u32_u24_e32 v4, 0x5b, v4
	v_add_u32_sdwa v4, v4, v5 dst_sel:DWORD dst_unused:UNUSED_PAD src0_sel:DWORD src1_sel:BYTE_0
	v_lshl_add_u32 v4, v4, 3, v208
	s_waitcnt lgkmcnt(0)
	s_barrier
	v_accvgpr_write_b32 a33, v4
	s_waitcnt vmcnt(6)
	v_mul_f32_e32 v89, v59, v21
	v_mul_f32_e32 v97, v65, v46
	;; [unrolled: 1-line block ×3, first 2 shown]
	s_waitcnt vmcnt(4)
	v_mul_f32_e32 v2, v57, v41
	v_mul_f32_e32 v103, v64, v47
	v_mul_f32_e32 v77, v67, v54
	v_mul_f32_e32 v79, v66, v55
	s_waitcnt vmcnt(3)
	v_mul_f32_e32 v81, v63, v27
	v_fma_f32 v98, v60, v38, -v1
	v_fma_f32 v100, v56, v40, -v2
	;; [unrolled: 1-line block ×3, first 2 shown]
	s_waitcnt vmcnt(2)
	v_pk_mul_f32 v[0:1], v[0:1], v[12:13] op_sel_hi:[0,1]
	v_pk_mul_f32 v[88:89], v[88:89], v[14:15] op_sel_hi:[0,1]
	s_waitcnt vmcnt(1)
	v_pk_mul_f32 v[90:91], v[90:91], v[8:9] op_sel_hi:[0,1]
	v_mov_b32_e32 v102, v11
	s_waitcnt vmcnt(0)
	v_pk_mul_f32 v[104:105], v[86:87], v[16:17] op_sel:[0,1]
	v_pk_mul_f32 v[106:107], v[96:97], v[18:19] op_sel_hi:[0,1]
	v_fma_f32 v94, v62, v26, -v81
	v_pk_fma_f32 v[108:109], v[76:77], v[12:13], v[0:1] op_sel:[0,0,1] op_sel_hi:[1,1,0] neg_lo:[0,0,1] neg_hi:[0,0,1]
	v_pk_fma_f32 v[0:1], v[76:77], v[12:13], v[0:1] op_sel:[0,0,1] op_sel_hi:[0,1,0]
	v_pk_fma_f32 v[110:111], v[78:79], v[14:15], v[88:89] op_sel:[0,0,1] op_sel_hi:[1,1,0] neg_lo:[0,0,1] neg_hi:[0,0,1]
	v_pk_fma_f32 v[88:89], v[78:79], v[14:15], v[88:89] op_sel:[0,0,1] op_sel_hi:[0,1,0]
	;; [unrolled: 2-line block ×3, first 2 shown]
	v_pk_mul_f32 v[90:91], v[82:83], v[102:103] op_sel_hi:[1,0]
	v_pk_fma_f32 v[114:115], v[86:87], v[16:17], v[104:105] op_sel:[0,0,1] op_sel_hi:[1,0,0] neg_lo:[0,0,1] neg_hi:[0,0,1]
	v_pk_fma_f32 v[86:87], v[86:87], v[16:17], v[104:105] op_sel:[0,0,1] op_sel_hi:[1,0,0]
	v_pk_fma_f32 v[104:105], v[84:85], v[18:19], v[106:107] op_sel:[0,0,1] op_sel_hi:[1,1,0] neg_lo:[0,0,1] neg_hi:[0,0,1]
	v_pk_fma_f32 v[84:85], v[84:85], v[18:19], v[106:107] op_sel:[0,0,1] op_sel_hi:[0,1,0]
	v_mov_b32_e32 v109, v1
	v_mov_b32_e32 v111, v89
	;; [unrolled: 1-line block ×3, first 2 shown]
	v_pk_fma_f32 v[0:1], v[82:83], v[10:11], v[90:91] op_sel:[0,0,1] op_sel_hi:[1,1,0] neg_lo:[0,0,1] neg_hi:[0,0,1]
	v_pk_fma_f32 v[80:81], v[82:83], v[10:11], v[90:91] op_sel:[0,0,1] op_sel_hi:[1,0,0]
	v_mov_b32_e32 v115, v87
	v_mov_b32_e32 v105, v85
	;; [unrolled: 1-line block ×3, first 2 shown]
	v_pk_add_f32 v[80:81], v[108:109], v[104:105]
	v_pk_add_f32 v[84:85], v[110:111], v[114:115]
	;; [unrolled: 1-line block ×3, first 2 shown]
	v_pk_add_f32 v[90:91], v[0:1], v[112:113] neg_lo:[0,1] neg_hi:[0,1]
	v_pk_add_f32 v[0:1], v[84:85], v[80:81]
	v_pk_add_f32 v[82:83], v[108:109], v[104:105] neg_lo:[0,1] neg_hi:[0,1]
	v_pk_add_f32 v[86:87], v[110:111], v[114:115] neg_lo:[0,1] neg_hi:[0,1]
	v_mov_b32_e32 v110, v0
	v_mov_b32_e32 v111, v89
	;; [unrolled: 1-line block ×3, first 2 shown]
	v_pk_add_f32 v[104:105], v[84:85], v[80:81] neg_lo:[0,1] neg_hi:[0,1]
	v_pk_add_f32 v[106:107], v[86:87], v[82:83] op_sel:[1,1] op_sel_hi:[0,0] neg_lo:[0,1] neg_hi:[0,1]
	v_pk_add_f32 v[84:85], v[88:89], v[84:85] neg_lo:[0,1] neg_hi:[0,1]
	v_pk_add_f32 v[108:109], v[90:91], v[86:87] op_sel:[1,1] op_sel_hi:[0,0]
	v_pk_add_f32 v[86:87], v[90:91], v[86:87] op_sel:[1,1] op_sel_hi:[0,0] neg_lo:[0,1] neg_hi:[0,1]
	v_pk_add_f32 v[110:111], v[110:111], v[0:1]
	v_pk_add_f32 v[80:81], v[80:81], v[88:89] neg_lo:[0,1] neg_hi:[0,1]
	v_pk_add_f32 v[108:109], v[108:109], v[82:83] op_sel:[0,1] op_sel_hi:[1,0]
	v_pk_add_f32 v[0:1], v[74:75], v[110:111]
	v_pk_mul_f32 v[74:75], v[84:85], s[24:25] op_sel_hi:[1,0]
	v_pk_mul_f32 v[86:87], v[86:87], s[30:31] op_sel_hi:[1,0]
	v_pk_add_f32 v[82:83], v[82:83], v[90:91] op_sel:[1,1] op_sel_hi:[0,0] neg_lo:[0,1] neg_hi:[0,1]
	v_pk_mul_f32 v[80:81], v[80:81], s[26:27] op_sel_hi:[1,0]
	v_pk_mul_f32 v[112:113], v[106:107], s[20:21] op_sel_hi:[1,0]
	v_pk_fma_f32 v[110:111], v[110:111], s[22:23], v[0:1] op_sel_hi:[1,0,1] neg_lo:[1,0,0] neg_hi:[1,0,0]
	v_pk_fma_f32 v[74:75], v[104:105], s[18:19], v[74:75] op_sel_hi:[1,0,1] neg_lo:[0,0,1] neg_hi:[0,0,1]
	;; [unrolled: 1-line block ×3, first 2 shown]
	v_pk_fma_f32 v[84:85], v[84:85], s[24:25], v[80:81] op_sel_hi:[1,0,1]
	v_pk_fma_f32 v[86:87], v[82:83], s[28:29], v[86:87] op_sel_hi:[1,0,1]
	v_pk_add_f32 v[74:75], v[74:75], v[110:111]
	v_pk_fma_f32 v[80:81], v[104:105], s[18:19], v[80:81] op_sel_hi:[1,0,1] neg_lo:[1,0,1] neg_hi:[1,0,1]
	v_pk_fma_f32 v[82:83], v[82:83], s[28:29], v[112:113] op_sel_hi:[1,0,1] neg_lo:[1,0,1] neg_hi:[1,0,1]
	v_pk_add_f32 v[84:85], v[84:85], v[110:111]
	v_pk_fma_f32 v[86:87], v[108:109], s[14:15], v[86:87] op_sel_hi:[1,0,1]
	v_pk_fma_f32 v[104:105], v[108:109], s[14:15], v[106:107] op_sel_hi:[1,0,1]
	v_pk_add_f32 v[80:81], v[80:81], v[110:111]
	v_pk_fma_f32 v[90:91], v[108:109], s[14:15], v[82:83] op_sel_hi:[1,0,1]
	v_pk_add_f32 v[106:107], v[84:85], v[86:87]
	v_pk_add_f32 v[82:83], v[84:85], v[86:87] neg_lo:[0,1] neg_hi:[0,1]
	v_pk_add_f32 v[110:111], v[74:75], v[104:105] neg_lo:[0,1] neg_hi:[0,1]
	v_pk_add_f32 v[86:87], v[74:75], v[104:105]
	v_pk_mul_f32 v[104:105], v[68:69], v[36:37] op_sel_hi:[1,0]
	v_mov_b32_e32 v88, v106
	v_mov_b32_e32 v89, v83
	v_pk_add_f32 v[108:109], v[80:81], v[90:91]
	v_pk_add_f32 v[80:81], v[80:81], v[90:91] neg_lo:[0,1] neg_hi:[0,1]
	v_mov_b32_e32 v83, v107
	v_pk_fma_f32 v[106:107], v[68:69], v[36:37], v[104:105] op_sel:[0,1,1] op_sel_hi:[1,1,0]
	v_pk_fma_f32 v[68:69], v[68:69], v[36:37], v[104:105] op_sel:[0,1,1] op_sel_hi:[1,1,0] neg_lo:[1,0,0] neg_hi:[1,0,0]
	v_mov_b32_e32 v104, v61
	v_mov_b32_e32 v105, v64
	;; [unrolled: 1-line block ×10, first 2 shown]
	v_pk_mul_f32 v[60:61], v[60:61], v[64:65]
	v_mul_f32_e32 v99, v33, v44
	v_mul_f32_e32 v101, v32, v45
	v_pk_fma_f32 v[64:65], v[104:105], v[38:39], v[60:61]
	v_pk_fma_f32 v[60:61], v[104:105], v[108:109], v[60:61] neg_lo:[0,0,1] neg_hi:[0,0,1]
	v_mov_b32_e32 v104, v57
	v_mov_b32_e32 v105, v32
	;; [unrolled: 1-line block ×7, first 2 shown]
	v_pk_mul_f32 v[32:33], v[56:57], v[32:33]
	v_mov_b32_e32 v107, v69
	v_pk_fma_f32 v[56:57], v[104:105], v[40:41], v[32:33]
	v_pk_fma_f32 v[32:33], v[104:105], v[108:109], v[32:33] neg_lo:[0,0,1] neg_hi:[0,0,1]
	v_pk_mul_f32 v[104:105], v[48:49], v[42:43] op_sel_hi:[1,0]
	v_mov_b32_e32 v32, v43
	v_pk_fma_f32 v[108:109], v[48:49], v[32:33], v[104:105] op_sel:[0,0,1] op_sel_hi:[1,0,0]
	v_pk_fma_f32 v[48:49], v[48:49], v[32:33], v[104:105] op_sel:[0,0,1] op_sel_hi:[1,0,0] neg_lo:[1,0,0] neg_hi:[1,0,0]
	v_mov_b32_e32 v65, v61
	v_mov_b32_e32 v57, v33
	;; [unrolled: 1-line block ×5, first 2 shown]
	v_pk_add_f32 v[74:75], v[98:99], v[100:101]
	v_pk_add_f32 v[104:105], v[106:107], v[108:109]
	v_pk_add_f32 v[106:107], v[106:107], v[108:109] neg_lo:[0,1] neg_hi:[0,1]
	v_pk_add_f32 v[108:109], v[64:65], v[56:57]
	v_pk_add_f32 v[48:49], v[96:97], v[102:103]
	v_pk_add_f32 v[56:57], v[64:65], v[56:57] neg_lo:[0,1] neg_hi:[0,1]
	v_mov_b32_e32 v64, v49
	v_mov_b32_e32 v65, v98
	;; [unrolled: 1-line block ×8, first 2 shown]
	v_pk_add_f32 v[64:65], v[64:65], v[68:69] neg_lo:[0,1] neg_hi:[0,1]
	v_pk_add_f32 v[102:103], v[74:75], v[48:49]
	v_pk_add_f32 v[32:33], v[32:33], v[60:61]
	v_mov_b32_e32 v98, v64
	v_mov_b32_e32 v99, v107
	;; [unrolled: 1-line block ×9, first 2 shown]
	v_pk_add_f32 v[98:99], v[98:99], v[56:57] neg_lo:[0,1] neg_hi:[0,1]
	s_mov_b32 s31, s28
	v_pk_add_f32 v[60:61], v[60:61], v[74:75] neg_lo:[0,1] neg_hi:[0,1]
	v_mov_b32_e32 v49, v103
	v_mov_b32_e32 v110, v32
	;; [unrolled: 1-line block ×3, first 2 shown]
	v_pk_add_f32 v[32:33], v[102:103], v[32:33]
	s_mov_b32 s25, s26
	v_pk_add_f32 v[68:69], v[68:69], v[64:65] neg_lo:[0,1] neg_hi:[0,1]
	s_mov_b32 s29, s30
	v_pk_mul_f32 v[98:99], v[98:99], s[30:31]
	v_pk_add_f32 v[100:101], v[56:57], v[64:65]
	v_pk_add_f32 v[110:111], v[48:49], v[110:111] neg_lo:[0,1] neg_hi:[0,1]
	v_pk_add_f32 v[28:29], v[28:29], v[32:33]
	v_pk_mul_f32 v[60:61], v[60:61], s[24:25]
	s_mov_b32 s27, s24
	v_pk_mul_f32 v[96:97], v[68:69], s[28:29]
	v_pk_add_f32 v[100:101], v[100:101], v[106:107]
	v_pk_mul_f32 v[102:103], v[110:111], s[26:27]
	v_pk_fma_f32 v[32:33], v[32:33], s[22:23], v[28:29] op_sel_hi:[1,0,1] neg_lo:[1,0,0] neg_hi:[1,0,0]
	v_pk_fma_f32 v[110:111], v[110:111], s[26:27], v[60:61]
	v_pk_fma_f32 v[68:69], v[68:69], s[28:29], v[98:99]
	v_pk_add_f32 v[110:111], v[110:111], v[32:33]
	v_pk_fma_f32 v[68:69], v[100:101], s[14:15], v[68:69] op_sel_hi:[1,0,1]
	v_mov_b32_e32 v57, v65
	v_pk_add_f32 v[112:113], v[110:111], v[68:69]
	v_pk_add_f32 v[68:69], v[110:111], v[68:69] neg_lo:[0,1] neg_hi:[0,1]
	v_mov_b32_e32 v110, v112
	v_mov_b32_e32 v111, v69
	v_mov_b32_e32 v75, v108
	v_mov_b32_e32 v49, v104
	ds_write2_b64 v4, v[28:29], v[110:111] offset1:13
	v_pk_add_f32 v[28:29], v[56:57], v[106:107] neg_lo:[0,1] neg_hi:[0,1]
	v_pk_add_f32 v[48:49], v[74:75], v[48:49] neg_lo:[0,1] neg_hi:[0,1]
	v_mov_b32_e32 v56, v102
	v_mov_b32_e32 v57, v61
	;; [unrolled: 1-line block ×6, first 2 shown]
	v_pk_fma_f32 v[56:57], v[48:49], s[18:19], v[56:57] op_sel_hi:[1,0,1] neg_lo:[1,0,1] neg_hi:[1,0,1]
	v_pk_fma_f32 v[64:65], v[28:29], s[20:21], v[64:65] op_sel_hi:[1,0,1] neg_lo:[1,0,1] neg_hi:[1,0,1]
	v_pk_fma_f32 v[48:49], v[48:49], s[18:19], v[60:61] op_sel_hi:[1,0,1] neg_lo:[0,0,1] neg_hi:[0,0,1]
	v_pk_fma_f32 v[28:29], v[28:29], s[20:21], v[98:99] op_sel_hi:[1,0,1] neg_lo:[0,0,1] neg_hi:[0,0,1]
	v_pk_add_f32 v[56:57], v[56:57], v[32:33]
	v_pk_fma_f32 v[64:65], v[100:101], s[14:15], v[64:65] op_sel_hi:[1,0,1]
	v_pk_add_f32 v[32:33], v[48:49], v[32:33]
	v_pk_fma_f32 v[28:29], v[100:101], s[14:15], v[28:29] op_sel_hi:[1,0,1]
	v_pk_add_f32 v[74:75], v[56:57], v[64:65]
	v_pk_add_f32 v[56:57], v[56:57], v[64:65] neg_lo:[0,1] neg_hi:[0,1]
	v_pk_add_f32 v[48:49], v[32:33], v[28:29] neg_lo:[0,1] neg_hi:[0,1]
	v_pk_add_f32 v[28:29], v[32:33], v[28:29]
	v_mov_b32_e32 v64, v74
	v_mov_b32_e32 v65, v57
	;; [unrolled: 1-line block ×6, first 2 shown]
	ds_write2_b64 v4, v[64:65], v[32:33] offset0:26 offset1:39
	ds_write2_b64 v4, v[28:29], v[56:57] offset0:52 offset1:65
	v_mov_b32_e32 v56, v63
	v_mov_b32_e32 v63, v67
	;; [unrolled: 1-line block ×7, first 2 shown]
	v_pk_mul_f32 v[62:63], v[62:63], v[64:65]
	v_mul_f32_e32 v95, v35, v52
	v_mul_f32_e32 v3, v34, v53
	v_pk_mul_f32 v[32:33], v[70:71], v[24:25] op_sel_hi:[1,0]
	v_pk_fma_f32 v[64:65], v[56:57], v[26:27], v[62:63]
	v_pk_fma_f32 v[56:57], v[56:57], v[60:61], v[62:63] neg_lo:[0,0,1] neg_hi:[0,0,1]
	v_mov_b32_e32 v60, v59
	v_mov_b32_e32 v61, v34
	;; [unrolled: 1-line block ×5, first 2 shown]
	v_pk_fma_f32 v[48:49], v[70:71], v[24:25], v[32:33] op_sel:[0,1,1] op_sel_hi:[1,1,0]
	v_pk_fma_f32 v[32:33], v[70:71], v[24:25], v[32:33] op_sel:[0,1,1] op_sel_hi:[1,1,0] neg_lo:[1,0,0] neg_hi:[1,0,0]
	v_mov_b32_e32 v62, v20
	v_mov_b32_e32 v63, v52
	v_pk_mul_f32 v[34:35], v[58:59], v[34:35]
	v_mov_b32_e32 v32, v23
	v_pk_fma_f32 v[58:59], v[60:61], v[20:21], v[34:35]
	v_pk_fma_f32 v[34:35], v[60:61], v[62:63], v[34:35] neg_lo:[0,0,1] neg_hi:[0,0,1]
	v_pk_mul_f32 v[60:61], v[50:51], v[22:23] op_sel_hi:[1,0]
	v_mov_b32_e32 v49, v33
	v_pk_fma_f32 v[62:63], v[50:51], v[32:33], v[60:61] op_sel:[0,0,1] op_sel_hi:[1,0,0]
	v_pk_fma_f32 v[50:51], v[50:51], v[32:33], v[60:61] op_sel:[0,0,1] op_sel_hi:[1,0,0] neg_lo:[1,0,0] neg_hi:[1,0,0]
	v_mov_b32_e32 v65, v57
	v_mov_b32_e32 v59, v35
	;; [unrolled: 1-line block ×5, first 2 shown]
	v_pk_add_f32 v[28:29], v[94:95], v[2:3]
	v_pk_add_f32 v[60:61], v[48:49], v[62:63]
	v_pk_add_f32 v[48:49], v[48:49], v[62:63] neg_lo:[0,1] neg_hi:[0,1]
	v_pk_add_f32 v[62:63], v[64:65], v[58:59]
	v_pk_add_f32 v[32:33], v[76:77], v[78:79]
	v_pk_add_f32 v[58:59], v[64:65], v[58:59] neg_lo:[0,1] neg_hi:[0,1]
	v_mov_b32_e32 v50, v33
	v_mov_b32_e32 v51, v94
	;; [unrolled: 1-line block ×8, first 2 shown]
	v_pk_add_f32 v[2:3], v[50:51], v[64:65] neg_lo:[0,1] neg_hi:[0,1]
	v_pk_add_f32 v[70:71], v[28:29], v[32:33]
	v_pk_add_f32 v[34:35], v[34:35], v[56:57]
	v_mov_b32_e32 v66, v2
	v_mov_b32_e32 v67, v49
	;; [unrolled: 1-line block ×7, first 2 shown]
	v_pk_add_f32 v[66:67], v[66:67], v[58:59] neg_lo:[0,1] neg_hi:[0,1]
	v_pk_add_f32 v[56:57], v[56:57], v[28:29] neg_lo:[0,1] neg_hi:[0,1]
	v_mov_b32_e32 v33, v71
	v_mov_b32_e32 v74, v34
	;; [unrolled: 1-line block ×3, first 2 shown]
	v_pk_add_f32 v[34:35], v[70:71], v[34:35]
	ds_write_b64 v4, v[68:69] offset:624
	v_pk_add_f32 v[50:51], v[50:51], v[2:3] neg_lo:[0,1] neg_hi:[0,1]
	v_pk_mul_f32 v[66:67], v[66:67], s[30:31]
	v_pk_add_f32 v[68:69], v[58:59], v[2:3]
	v_pk_add_f32 v[74:75], v[32:33], v[74:75] neg_lo:[0,1] neg_hi:[0,1]
	v_pk_add_f32 v[30:31], v[30:31], v[34:35]
	v_pk_mul_f32 v[56:57], v[56:57], s[24:25]
	v_pk_mul_f32 v[64:65], v[50:51], s[28:29]
	v_pk_add_f32 v[68:69], v[68:69], v[48:49]
	v_pk_mul_f32 v[70:71], v[74:75], s[26:27]
	v_pk_fma_f32 v[34:35], v[34:35], s[22:23], v[30:31] op_sel_hi:[1,0,1] neg_lo:[1,0,0] neg_hi:[1,0,0]
	v_pk_fma_f32 v[74:75], v[74:75], s[26:27], v[56:57]
	v_pk_fma_f32 v[50:51], v[50:51], s[28:29], v[66:67]
	v_mul_u32_u24_e32 v4, 0x5b, v6
	v_pk_add_f32 v[74:75], v[74:75], v[34:35]
	v_pk_fma_f32 v[50:51], v[68:69], s[14:15], v[50:51] op_sel_hi:[1,0,1]
	v_add_u32_sdwa v4, v4, v7 dst_sel:DWORD dst_unused:UNUSED_PAD src0_sel:DWORD src1_sel:BYTE_0
	v_pk_add_f32 v[76:77], v[74:75], v[50:51]
	v_pk_add_f32 v[50:51], v[74:75], v[50:51] neg_lo:[0,1] neg_hi:[0,1]
	v_lshl_add_u32 v4, v4, 3, v208
	v_mov_b32_e32 v74, v76
	v_mov_b32_e32 v75, v51
	;; [unrolled: 1-line block ×5, first 2 shown]
	ds_write2_b64 v4, v[30:31], v[74:75] offset1:13
	v_pk_add_f32 v[2:3], v[58:59], v[48:49] neg_lo:[0,1] neg_hi:[0,1]
	v_pk_add_f32 v[28:29], v[28:29], v[32:33] neg_lo:[0,1] neg_hi:[0,1]
	v_mov_b32_e32 v30, v70
	v_mov_b32_e32 v31, v57
	v_mov_b32_e32 v32, v64
	v_mov_b32_e32 v33, v67
	v_mov_b32_e32 v57, v71
	v_mov_b32_e32 v67, v65
	v_pk_fma_f32 v[30:31], v[28:29], s[18:19], v[30:31] op_sel_hi:[1,0,1] neg_lo:[1,0,1] neg_hi:[1,0,1]
	v_pk_fma_f32 v[32:33], v[2:3], s[20:21], v[32:33] op_sel_hi:[1,0,1] neg_lo:[1,0,1] neg_hi:[1,0,1]
	;; [unrolled: 1-line block ×4, first 2 shown]
	v_pk_add_f32 v[30:31], v[30:31], v[34:35]
	v_pk_fma_f32 v[32:33], v[68:69], s[14:15], v[32:33] op_sel_hi:[1,0,1]
	v_pk_add_f32 v[28:29], v[28:29], v[34:35]
	v_pk_fma_f32 v[2:3], v[68:69], s[14:15], v[2:3] op_sel_hi:[1,0,1]
	v_pk_add_f32 v[48:49], v[30:31], v[32:33]
	v_pk_add_f32 v[30:31], v[30:31], v[32:33] neg_lo:[0,1] neg_hi:[0,1]
	v_pk_add_f32 v[34:35], v[28:29], v[2:3] neg_lo:[0,1] neg_hi:[0,1]
	v_pk_add_f32 v[2:3], v[28:29], v[2:3]
	v_mov_b32_e32 v33, v31
	v_mov_b32_e32 v29, v3
	;; [unrolled: 1-line block ×4, first 2 shown]
	ds_write2_b64 v4, v[2:3], v[30:31] offset0:52 offset1:65
	v_lshl_add_u32 v2, v73, 3, v208
	v_mov_b32_e32 v32, v48
	v_mov_b32_e32 v28, v34
	;; [unrolled: 1-line block ×3, first 2 shown]
	v_accvgpr_write_b32 a34, v4
	v_accvgpr_write_b32 a32, v2
	ds_write2_b64 v4, v[32:33], v[28:29] offset0:26 offset1:39
	ds_write_b64 v4, v[50:51] offset:624
	s_and_saveexec_b64 s[14:15], s[2:3]
	s_cbranch_execz .LBB0_11
; %bb.10:
	v_accvgpr_read_b32 v3, a32
	v_add_u32_e32 v2, 0x2400, v3
	ds_write2_b64 v2, v[0:1], v[88:89] offset0:122 offset1:135
	v_add_u32_e32 v0, 0x2800, v3
	ds_write2_b64 v0, v[90:91], v[84:85] offset0:20 offset1:33
	ds_write2_b64 v0, v[86:87], v[80:81] offset0:46 offset1:59
	ds_write_b64 v3, v[82:83] offset:10816
.LBB0_11:
	s_or_b64 exec, exec, s[14:15]
	v_lshlrev_b32_e32 v2, 3, v136
	v_mov_b32_e32 v3, 0
	v_lshl_add_u64 v[96:97], s[16:17], 0, v[2:3]
	v_lshlrev_b32_e32 v2, 5, v136
	s_waitcnt lgkmcnt(0)
	s_barrier
	global_load_dwordx4 v[32:35], v2, s[0:1] offset:624
	global_load_dwordx4 v[28:31], v2, s[0:1] offset:640
	s_movk_i32 s14, 0x6817
	v_mul_u32_u24_sdwa v4, v92, s14 dst_sel:DWORD dst_unused:UNUSED_PAD src0_sel:WORD_0 src1_sel:DWORD
	v_lshl_add_u64 v[0:1], s[0:1], 0, v[2:3]
	v_sub_u16_sdwa v2, v92, v4 dst_sel:DWORD dst_unused:UNUSED_PAD src0_sel:DWORD src1_sel:WORD_1
	v_lshrrev_b16_e32 v2, 1, v2
	v_add_u16_sdwa v2, v2, v4 dst_sel:DWORD dst_unused:UNUSED_PAD src0_sel:DWORD src1_sel:WORD_1
	v_lshrrev_b16_e32 v2, 6, v2
	v_mul_lo_u16_e32 v2, 0x5b, v2
	v_sub_u16_e32 v4, v92, v2
	v_lshlrev_b16_e32 v2, 5, v4
	v_lshl_add_u64 v[2:3], s[0:1], 0, v[2:3]
	global_load_dwordx4 v[56:59], v[2:3], off offset:624
	global_load_dwordx4 v[48:51], v[2:3], off offset:640
	ds_read2_b64 v[60:63], v214 offset1:91
	v_add_u32_e32 v2, 0x400, v214
	v_add_u32_e32 v3, 0x1000, v214
	;; [unrolled: 1-line block ×6, first 2 shown]
	ds_read_b64 v[78:79], v214 offset:10192
	ds_read2_b64 v[64:67], v2 offset0:54 offset1:145
	ds_read2_b64 v[68:71], v3 offset0:34 offset1:125
	;; [unrolled: 1-line block ×6, first 2 shown]
	s_mov_b32 s14, 0x3f737871
	s_mov_b32 s18, 0x3f167918
	;; [unrolled: 1-line block ×3, first 2 shown]
	s_waitcnt lgkmcnt(0)
	s_barrier
	v_lshl_add_u32 v7, v4, 3, v208
	v_add_u32_e32 v4, 0x1800, v7
	v_accvgpr_write_b32 a19, v7
	v_lshl_add_u32 v215, v136, 3, v208
	v_accvgpr_write_b32 a13, v208
	s_waitcnt vmcnt(3)
	v_pk_mul_f32 v[94:95], v[66:67], v[32:33] op_sel:[0,1]
	v_mov_b32_e32 v106, v35
	s_waitcnt vmcnt(2)
	v_pk_mul_f32 v[114:115], v[76:77], v[28:29] op_sel:[0,1]
	v_mov_b32_e32 v118, v31
	v_pk_fma_f32 v[120:121], v[66:67], v[32:33], v[94:95] op_sel:[0,0,1] op_sel_hi:[1,1,0] neg_lo:[0,0,1] neg_hi:[0,0,1]
	v_pk_fma_f32 v[66:67], v[66:67], v[32:33], v[94:95] op_sel:[0,0,1] op_sel_hi:[1,0,0]
	v_pk_mul_f32 v[94:95], v[68:69], v[106:107] op_sel_hi:[1,0]
	v_pk_fma_f32 v[122:123], v[76:77], v[28:29], v[114:115] op_sel:[0,0,1] op_sel_hi:[1,1,0] neg_lo:[0,0,1] neg_hi:[0,0,1]
	v_pk_fma_f32 v[76:77], v[76:77], v[28:29], v[114:115] op_sel:[0,0,1] op_sel_hi:[1,0,0]
	v_pk_mul_f32 v[114:115], v[98:99], v[118:119] op_sel_hi:[1,0]
	v_mov_b32_e32 v121, v67
	v_pk_fma_f32 v[66:67], v[68:69], v[34:35], v[94:95] op_sel:[0,0,1] op_sel_hi:[1,1,0] neg_lo:[0,0,1] neg_hi:[0,0,1]
	v_pk_fma_f32 v[68:69], v[68:69], v[34:35], v[94:95] op_sel:[0,0,1] op_sel_hi:[1,0,0]
	v_mov_b32_e32 v123, v77
	v_pk_fma_f32 v[76:77], v[98:99], v[30:31], v[114:115] op_sel:[0,0,1] op_sel_hi:[1,1,0] neg_lo:[0,0,1] neg_hi:[0,0,1]
	v_pk_fma_f32 v[94:95], v[98:99], v[30:31], v[114:115] op_sel:[0,0,1] op_sel_hi:[1,0,0]
	v_mov_b32_e32 v67, v69
	v_mov_b32_e32 v77, v95
	v_pk_add_f32 v[68:69], v[60:61], v[120:121]
	v_pk_add_f32 v[94:95], v[66:67], v[122:123]
	;; [unrolled: 1-line block ×4, first 2 shown]
	v_pk_add_f32 v[98:99], v[120:121], v[76:77] neg_lo:[0,1] neg_hi:[0,1]
	v_pk_add_f32 v[114:115], v[66:67], v[122:123] neg_lo:[0,1] neg_hi:[0,1]
	;; [unrolled: 1-line block ×5, first 2 shown]
	v_pk_fma_f32 v[94:95], v[94:95], 0.5, v[60:61] op_sel_hi:[1,0,1] neg_lo:[1,0,0] neg_hi:[1,0,0]
	v_pk_add_f32 v[68:69], v[68:69], v[122:123]
	v_pk_fma_f32 v[60:61], v[128:129], 0.5, v[60:61] op_sel_hi:[1,0,1] neg_lo:[1,0,0] neg_hi:[1,0,0]
	v_pk_mul_f32 v[128:129], v[102:103], v[32:33] op_sel:[0,1]
	v_pk_add_f32 v[126:127], v[76:77], v[122:123] neg_lo:[0,1] neg_hi:[0,1]
	v_pk_add_f32 v[66:67], v[66:67], v[120:121]
	v_pk_fma_f32 v[120:121], v[98:99], s[14:15], v[94:95] op_sel:[1,0,0] op_sel_hi:[0,0,1]
	v_pk_fma_f32 v[94:95], v[98:99], s[14:15], v[94:95] op_sel:[1,0,0] op_sel_hi:[0,0,1] neg_lo:[1,0,0] neg_hi:[1,0,0]
	v_pk_add_f32 v[68:69], v[68:69], v[76:77]
	v_pk_fma_f32 v[76:77], v[114:115], s[14:15], v[60:61] op_sel:[1,0,0] op_sel_hi:[0,0,1] neg_lo:[1,0,0] neg_hi:[1,0,0]
	v_pk_fma_f32 v[60:61], v[114:115], s[14:15], v[60:61] op_sel:[1,0,0] op_sel_hi:[0,0,1]
	v_pk_fma_f32 v[130:131], v[102:103], v[32:33], v[128:129] op_sel:[0,0,1] op_sel_hi:[1,1,0] neg_lo:[0,0,1] neg_hi:[0,0,1]
	v_pk_fma_f32 v[102:103], v[102:103], v[32:33], v[128:129] op_sel:[0,0,1] op_sel_hi:[1,0,0]
	;; [unrolled: 2-line block ×4, first 2 shown]
	v_mov_b32_e32 v131, v103
	v_pk_mul_f32 v[102:103], v[70:71], v[106:107] op_sel_hi:[1,0]
	v_pk_add_f32 v[124:125], v[124:125], v[126:127]
	v_mov_b32_e32 v98, v114
	v_mov_b32_e32 v99, v95
	;; [unrolled: 1-line block ×6, first 2 shown]
	v_pk_fma_f32 v[106:107], v[70:71], v[34:35], v[102:103] op_sel:[0,0,1] op_sel_hi:[1,1,0] neg_lo:[0,0,1] neg_hi:[0,0,1]
	v_pk_fma_f32 v[70:71], v[70:71], v[34:35], v[102:103] op_sel:[0,0,1] op_sel_hi:[1,0,0]
	v_pk_fma_f32 v[76:77], v[124:125], s[16:17], v[98:99] op_sel_hi:[1,0,1]
	v_pk_fma_f32 v[98:99], v[66:67], s[16:17], v[120:121] op_sel_hi:[1,0,1]
	;; [unrolled: 1-line block ×4, first 2 shown]
	s_waitcnt vmcnt(1)
	v_pk_mul_f32 v[94:95], v[104:105], v[56:57] op_sel:[0,1]
	v_mov_b32_e32 v107, v71
	v_pk_mul_f32 v[70:71], v[110:111], v[28:29] op_sel:[0,1]
	v_pk_fma_f32 v[114:115], v[104:105], v[56:57], v[94:95] op_sel:[0,0,1] op_sel_hi:[1,1,0] neg_lo:[0,0,1] neg_hi:[0,0,1]
	v_pk_fma_f32 v[94:95], v[104:105], v[56:57], v[94:95] op_sel:[0,0,1] op_sel_hi:[1,0,0]
	v_pk_fma_f32 v[102:103], v[110:111], v[28:29], v[70:71] op_sel:[0,0,1] op_sel_hi:[1,1,0] neg_lo:[0,0,1] neg_hi:[0,0,1]
	v_pk_fma_f32 v[70:71], v[110:111], v[28:29], v[70:71] op_sel:[0,0,1] op_sel_hi:[1,0,0]
	v_mov_b32_e32 v94, v59
	v_mov_b32_e32 v103, v71
	v_pk_mul_f32 v[70:71], v[100:101], v[118:119] op_sel_hi:[1,0]
	ds_write2_b64 v214, v[68:69], v[76:77] offset1:91
	ds_write2_b64 v2, v[98:99], v[60:61] offset0:54 offset1:145
	v_pk_add_f32 v[60:61], v[62:63], v[130:131]
	v_mov_b32_e32 v115, v95
	v_pk_mul_f32 v[94:95], v[74:75], v[94:95] op_sel_hi:[1,0]
	v_pk_fma_f32 v[110:111], v[100:101], v[30:31], v[70:71] op_sel:[0,0,1] op_sel_hi:[1,1,0] neg_lo:[0,0,1] neg_hi:[0,0,1]
	v_pk_fma_f32 v[70:71], v[100:101], v[30:31], v[70:71] op_sel:[0,0,1] op_sel_hi:[1,0,0]
	v_pk_add_f32 v[60:61], v[60:61], v[106:107]
	v_pk_fma_f32 v[104:105], v[74:75], v[58:59], v[94:95] op_sel:[0,0,1] op_sel_hi:[1,1,0] neg_lo:[0,0,1] neg_hi:[0,0,1]
	v_pk_fma_f32 v[74:75], v[74:75], v[58:59], v[94:95] op_sel:[0,0,1] op_sel_hi:[1,0,0]
	v_mov_b32_e32 v111, v71
	v_pk_add_f32 v[60:61], v[60:61], v[102:103]
	v_mov_b32_e32 v105, v75
	s_waitcnt vmcnt(0)
	v_pk_mul_f32 v[74:75], v[112:113], v[48:49] op_sel:[0,1]
	v_pk_add_f32 v[70:71], v[106:107], v[102:103]
	v_pk_add_f32 v[60:61], v[60:61], v[110:111]
	v_pk_fma_f32 v[94:95], v[112:113], v[48:49], v[74:75] op_sel:[0,0,1] op_sel_hi:[1,1,0] neg_lo:[0,0,1] neg_hi:[0,0,1]
	v_pk_fma_f32 v[74:75], v[112:113], v[48:49], v[74:75] op_sel:[0,0,1] op_sel_hi:[1,0,0]
	v_pk_fma_f32 v[70:71], v[70:71], 0.5, v[62:63] op_sel_hi:[1,0,1] neg_lo:[1,0,0] neg_hi:[1,0,0]
	v_pk_add_f32 v[100:101], v[130:131], v[110:111] neg_lo:[0,1] neg_hi:[0,1]
	v_pk_add_f32 v[128:129], v[130:131], v[106:107] neg_lo:[0,1] neg_hi:[0,1]
	v_pk_add_f32 v[132:133], v[110:111], v[102:103] neg_lo:[0,1] neg_hi:[0,1]
	ds_write2_b64 v6, v[66:67], v[60:61] offset0:108 offset1:199
	v_pk_add_f32 v[66:67], v[130:131], v[110:111]
	v_mov_b32_e32 v74, v51
	v_pk_add_f32 v[118:119], v[106:107], v[102:103] neg_lo:[0,1] neg_hi:[0,1]
	v_pk_add_f32 v[128:129], v[128:129], v[132:133]
	v_pk_fma_f32 v[132:133], v[100:101], s[14:15], v[70:71] op_sel:[1,0,0] op_sel_hi:[0,0,1] neg_lo:[1,0,0] neg_hi:[1,0,0]
	v_pk_fma_f32 v[70:71], v[100:101], s[14:15], v[70:71] op_sel:[1,0,0] op_sel_hi:[0,0,1]
	v_pk_fma_f32 v[62:63], v[66:67], 0.5, v[62:63] op_sel_hi:[1,0,1] neg_lo:[1,0,0] neg_hi:[1,0,0]
	v_pk_add_f32 v[66:67], v[106:107], v[130:131] neg_lo:[0,1] neg_hi:[0,1]
	v_pk_add_f32 v[68:69], v[102:103], v[110:111] neg_lo:[0,1] neg_hi:[0,1]
	v_mov_b32_e32 v95, v75
	v_pk_mul_f32 v[74:75], v[78:79], v[74:75] op_sel_hi:[1,0]
	v_pk_fma_f32 v[70:71], v[118:119], s[18:19], v[70:71] op_sel:[1,0,0] op_sel_hi:[0,0,1]
	v_pk_fma_f32 v[132:133], v[118:119], s[18:19], v[132:133] op_sel:[1,0,0] op_sel_hi:[0,0,1] neg_lo:[1,0,0] neg_hi:[1,0,0]
	v_pk_add_f32 v[66:67], v[66:67], v[68:69]
	v_pk_fma_f32 v[68:69], v[118:119], s[14:15], v[62:63] op_sel:[1,0,0] op_sel_hi:[0,0,1]
	v_pk_fma_f32 v[62:63], v[118:119], s[14:15], v[62:63] op_sel:[1,0,0] op_sel_hi:[0,0,1] neg_lo:[1,0,0] neg_hi:[1,0,0]
	v_pk_fma_f32 v[112:113], v[78:79], v[50:51], v[74:75] op_sel:[0,0,1] op_sel_hi:[1,1,0] neg_lo:[0,0,1] neg_hi:[0,0,1]
	v_pk_fma_f32 v[74:75], v[78:79], v[50:51], v[74:75] op_sel:[0,0,1] op_sel_hi:[1,0,0]
	v_mov_b32_e32 v135, v71
	v_mov_b32_e32 v71, v133
	v_pk_fma_f32 v[62:63], v[100:101], s[18:19], v[62:63] op_sel:[1,0,0] op_sel_hi:[0,0,1]
	v_pk_fma_f32 v[68:69], v[100:101], s[18:19], v[68:69] op_sel:[1,0,0] op_sel_hi:[0,0,1] neg_lo:[1,0,0] neg_hi:[1,0,0]
	v_mov_b32_e32 v113, v75
	v_pk_add_f32 v[74:75], v[104:105], v[94:95]
	v_pk_fma_f32 v[60:61], v[128:129], s[16:17], v[70:71] op_sel_hi:[1,0,1]
	v_mov_b32_e32 v71, v63
	v_mov_b32_e32 v63, v69
	v_pk_fma_f32 v[74:75], v[74:75], 0.5, v[64:65] op_sel_hi:[1,0,1] neg_lo:[1,0,0] neg_hi:[1,0,0]
	v_pk_add_f32 v[78:79], v[114:115], v[112:113] neg_lo:[0,1] neg_hi:[0,1]
	v_pk_add_f32 v[122:123], v[114:115], v[104:105] neg_lo:[0,1] neg_hi:[0,1]
	;; [unrolled: 1-line block ×3, first 2 shown]
	v_mov_b32_e32 v134, v132
	v_mov_b32_e32 v70, v68
	v_pk_fma_f32 v[62:63], v[66:67], s[16:17], v[62:63] op_sel_hi:[1,0,1]
	v_pk_add_f32 v[120:121], v[104:105], v[94:95] neg_lo:[0,1] neg_hi:[0,1]
	v_pk_add_f32 v[122:123], v[122:123], v[124:125]
	v_pk_fma_f32 v[124:125], v[78:79], s[14:15], v[74:75] op_sel:[1,0,0] op_sel_hi:[0,0,1] neg_lo:[1,0,0] neg_hi:[1,0,0]
	v_pk_fma_f32 v[74:75], v[78:79], s[14:15], v[74:75] op_sel:[1,0,0] op_sel_hi:[0,0,1]
	v_pk_fma_f32 v[134:135], v[128:129], s[16:17], v[134:135] op_sel_hi:[1,0,1]
	v_pk_fma_f32 v[70:71], v[66:67], s[16:17], v[70:71] op_sel_hi:[1,0,1]
	ds_write2_b64 v3, v[60:61], v[62:63] offset0:34 offset1:125
	ds_write2_b64 v5, v[70:71], v[134:135] offset0:88 offset1:179
	v_pk_add_f32 v[60:61], v[64:65], v[114:115]
	v_pk_fma_f32 v[74:75], v[120:121], s[18:19], v[74:75] op_sel:[1,0,0] op_sel_hi:[0,0,1]
	v_pk_fma_f32 v[124:125], v[120:121], s[18:19], v[124:125] op_sel:[1,0,0] op_sel_hi:[0,0,1] neg_lo:[1,0,0] neg_hi:[1,0,0]
	v_pk_add_f32 v[60:61], v[60:61], v[104:105]
	v_mov_b32_e32 v127, v75
	v_pk_add_f32 v[60:61], v[60:61], v[94:95]
	v_mov_b32_e32 v75, v125
	v_pk_add_f32 v[60:61], v[60:61], v[112:113]
	v_pk_fma_f32 v[62:63], v[122:123], s[16:17], v[74:75] op_sel_hi:[1,0,1]
	ds_write2_b64 v4, v[60:61], v[62:63] offset0:142 offset1:233
	v_pk_add_f32 v[60:61], v[114:115], v[112:113]
	v_pk_add_f32 v[62:63], v[104:105], v[114:115] neg_lo:[0,1] neg_hi:[0,1]
	v_pk_fma_f32 v[60:61], v[60:61], 0.5, v[64:65] op_sel_hi:[1,0,1] neg_lo:[1,0,0] neg_hi:[1,0,0]
	v_pk_add_f32 v[64:65], v[94:95], v[112:113] neg_lo:[0,1] neg_hi:[0,1]
	v_mov_b32_e32 v126, v124
	v_pk_add_f32 v[62:63], v[62:63], v[64:65]
	v_pk_fma_f32 v[64:65], v[120:121], s[14:15], v[60:61] op_sel:[1,0,0] op_sel_hi:[0,0,1]
	v_pk_fma_f32 v[60:61], v[120:121], s[14:15], v[60:61] op_sel:[1,0,0] op_sel_hi:[0,0,1] neg_lo:[1,0,0] neg_hi:[1,0,0]
	v_pk_fma_f32 v[60:61], v[78:79], s[18:19], v[60:61] op_sel:[1,0,0] op_sel_hi:[0,0,1]
	v_pk_fma_f32 v[64:65], v[78:79], s[18:19], v[64:65] op_sel:[1,0,0] op_sel_hi:[0,0,1] neg_lo:[1,0,0] neg_hi:[1,0,0]
	v_mov_b32_e32 v66, v64
	v_mov_b32_e32 v67, v61
	;; [unrolled: 1-line block ×3, first 2 shown]
	v_pk_fma_f32 v[66:67], v[62:63], s[16:17], v[66:67] op_sel_hi:[1,0,1]
	v_pk_fma_f32 v[60:61], v[62:63], s[16:17], v[60:61] op_sel_hi:[1,0,1]
	v_add_u32_e32 v4, 0x2000, v7
	v_pk_fma_f32 v[126:127], v[122:123], s[16:17], v[126:127] op_sel_hi:[1,0,1]
	ds_write2_b64 v4, v[60:61], v[66:67] offset0:68 offset1:159
	v_lshlrev_b32_e32 v4, 4, v72
	ds_write_b64 v7, v[126:127] offset:10192
	s_waitcnt lgkmcnt(0)
	s_barrier
	global_load_dwordx4 v[72:75], v4, s[0:1] offset:3536
	v_lshlrev_b32_e32 v4, 4, v92
	global_load_dwordx4 v[68:71], v4, s[0:1] offset:3536
	v_lshlrev_b32_e32 v4, 4, v136
	v_add_u32_e32 v7, 0x1110, v4
	global_load_dwordx4 v[64:67], v7, s[0:1] offset:3536
	v_sub_co_u32_e32 v0, vcc, v0, v4
	s_movk_i32 s14, 0x2000
	s_nop 0
	v_subbrev_co_u32_e32 v1, vcc, 0, v1, vcc
	global_load_dwordx4 v[76:79], v[0:1], off offset:3536
	v_add_u32_e32 v7, 0x16c0, v4
	global_load_dwordx4 v[60:63], v7, s[0:1] offset:3536
	ds_read2_b64 v[92:95], v3 offset0:34 offset1:125
	ds_read2_b64 v[98:101], v6 offset0:108 offset1:199
	ds_read2_b64 v[102:105], v214 offset1:91
	ds_read2_b64 v[110:113], v108 offset0:142 offset1:233
	s_mov_b32 s0, 0x3f5db3d7
	v_add_u32_e32 v4, 0x1800, v215
	s_movk_i32 s15, 0x1000
	s_waitcnt vmcnt(4) lgkmcnt(3)
	v_pk_mul_f32 v[0:1], v[92:93], v[72:73] op_sel:[0,1]
	s_nop 0
	v_pk_fma_f32 v[106:107], v[92:93], v[72:73], v[0:1] op_sel:[0,0,1] op_sel_hi:[1,1,0] neg_lo:[0,0,1] neg_hi:[0,0,1]
	v_pk_fma_f32 v[0:1], v[92:93], v[72:73], v[0:1] op_sel:[0,0,1] op_sel_hi:[1,0,0]
	s_waitcnt vmcnt(3)
	v_pk_mul_f32 v[92:93], v[94:95], v[68:69] op_sel:[0,1]
	v_mov_b32_e32 v0, v75
	v_mov_b32_e32 v107, v1
	s_waitcnt lgkmcnt(0)
	v_pk_mul_f32 v[0:1], v[112:113], v[0:1] op_sel_hi:[1,0]
	v_pk_fma_f32 v[124:125], v[94:95], v[68:69], v[92:93] op_sel:[0,0,1] op_sel_hi:[1,1,0] neg_lo:[0,0,1] neg_hi:[0,0,1]
	v_pk_fma_f32 v[122:123], v[112:113], v[74:75], v[0:1] op_sel:[0,0,1] op_sel_hi:[1,1,0] neg_lo:[0,0,1] neg_hi:[0,0,1]
	v_pk_fma_f32 v[0:1], v[112:113], v[74:75], v[0:1] op_sel:[0,0,1] op_sel_hi:[1,0,0]
	ds_read2_b64 v[112:115], v2 offset0:54 offset1:145
	ds_read2_b64 v[118:121], v116 offset0:68 offset1:159
	v_pk_fma_f32 v[92:93], v[94:95], v[68:69], v[92:93] op_sel:[0,0,1] op_sel_hi:[1,0,0]
	v_mov_b32_e32 v123, v1
	v_mov_b32_e32 v92, v71
	;; [unrolled: 1-line block ×3, first 2 shown]
	s_waitcnt lgkmcnt(0)
	v_pk_mul_f32 v[126:127], v[118:119], v[92:93] op_sel_hi:[1,0]
	ds_read2_b64 v[92:95], v5 offset0:88 offset1:179
	v_pk_fma_f32 v[128:129], v[118:119], v[70:71], v[126:127] op_sel:[0,0,1] op_sel_hi:[1,1,0] neg_lo:[0,0,1] neg_hi:[0,0,1]
	v_pk_fma_f32 v[118:119], v[118:119], v[70:71], v[126:127] op_sel:[0,0,1] op_sel_hi:[1,0,0]
	v_pk_add_f32 v[0:1], v[104:105], v[106:107]
	v_mov_b32_e32 v129, v119
	s_waitcnt vmcnt(2) lgkmcnt(0)
	v_pk_mul_f32 v[126:127], v[92:93], v[64:65] op_sel:[0,1]
	s_waitcnt vmcnt(0)
	v_pk_mul_f32 v[132:133], v[94:95], v[60:61] op_sel:[0,1]
	v_pk_fma_f32 v[130:131], v[92:93], v[64:65], v[126:127] op_sel:[0,0,1] op_sel_hi:[1,1,0] neg_lo:[0,0,1] neg_hi:[0,0,1]
	v_pk_fma_f32 v[92:93], v[92:93], v[64:65], v[126:127] op_sel:[0,0,1] op_sel_hi:[1,0,0]
	v_pk_fma_f32 v[134:135], v[94:95], v[60:61], v[132:133] op_sel:[0,0,1] op_sel_hi:[1,1,0] neg_lo:[0,0,1] neg_hi:[0,0,1]
	v_mov_b32_e32 v92, v67
	v_mov_b32_e32 v131, v93
	v_pk_mul_f32 v[92:93], v[120:121], v[92:93] op_sel_hi:[1,0]
	v_pk_fma_f32 v[94:95], v[94:95], v[60:61], v[132:133] op_sel:[0,0,1] op_sel_hi:[1,0,0]
	v_pk_fma_f32 v[126:127], v[120:121], v[66:67], v[92:93] op_sel:[0,0,1] op_sel_hi:[1,1,0] neg_lo:[0,0,1] neg_hi:[0,0,1]
	v_pk_fma_f32 v[92:93], v[120:121], v[66:67], v[92:93] op_sel:[0,0,1] op_sel_hi:[1,0,0]
	v_mov_b32_e32 v94, v63
	v_mov_b32_e32 v127, v93
	v_pk_add_f32 v[92:93], v[114:115], v[130:131]
	v_mov_b32_e32 v135, v95
	v_pk_add_f32 v[120:121], v[92:93], v[126:127]
	ds_read_b64 v[92:93], v214 offset:10192
	v_pk_add_f32 v[0:1], v[0:1], v[122:123]
	v_pk_add_f32 v[118:119], v[112:113], v[124:125]
	s_waitcnt lgkmcnt(0)
	v_pk_mul_f32 v[94:95], v[92:93], v[94:95] op_sel_hi:[1,0]
	s_nop 0
	v_pk_fma_f32 v[132:133], v[92:93], v[62:63], v[94:95] op_sel:[0,0,1] op_sel_hi:[1,1,0] neg_lo:[0,0,1] neg_hi:[0,0,1]
	v_pk_fma_f32 v[92:93], v[92:93], v[62:63], v[94:95] op_sel:[0,0,1] op_sel_hi:[1,0,0]
	v_pk_add_f32 v[118:119], v[118:119], v[128:129]
	v_mov_b32_e32 v133, v93
	v_pk_add_f32 v[92:93], v[134:135], v[132:133]
	v_pk_add_f32 v[94:95], v[134:135], v[132:133] neg_lo:[0,1] neg_hi:[0,1]
	v_pk_fma_f32 v[92:93], v[92:93], 0.5, v[98:99] op_sel_hi:[1,0,1] neg_lo:[1,0,0] neg_hi:[1,0,0]
	v_pk_mul_f32 v[94:95], v[94:95], s[0:1] op_sel_hi:[1,0]
	v_pk_add_f32 v[98:99], v[98:99], v[134:135]
	v_pk_mul_f32 v[134:135], v[100:101], v[76:77] op_sel:[0,1]
	v_pk_add_f32 v[132:133], v[98:99], v[132:133]
	v_pk_add_f32 v[98:99], v[92:93], v[94:95] op_sel:[0,1] op_sel_hi:[1,0]
	v_pk_add_f32 v[94:95], v[92:93], v[94:95] op_sel:[0,1] op_sel_hi:[1,0] neg_lo:[0,1] neg_hi:[0,1]
	v_mov_b32_e32 v92, v98
	v_pk_fma_f32 v[136:137], v[100:101], v[76:77], v[134:135] op_sel:[0,0,1] op_sel_hi:[1,1,0] neg_lo:[0,0,1] neg_hi:[0,0,1]
	v_pk_fma_f32 v[100:101], v[100:101], v[76:77], v[134:135] op_sel:[0,0,1] op_sel_hi:[1,0,0]
	v_mov_b32_e32 v98, v79
	v_mov_b32_e32 v137, v101
	v_pk_mul_f32 v[100:101], v[110:111], v[98:99] op_sel_hi:[1,0]
	v_add_u32_e32 v98, 0xc00, v215
	v_pk_fma_f32 v[134:135], v[110:111], v[78:79], v[100:101] op_sel:[0,0,1] op_sel_hi:[1,1,0] neg_lo:[0,0,1] neg_hi:[0,0,1]
	v_pk_fma_f32 v[100:101], v[110:111], v[78:79], v[100:101] op_sel:[0,0,1] op_sel_hi:[1,0,0]
	v_mov_b32_e32 v93, v95
	v_mov_b32_e32 v135, v101
	v_pk_add_f32 v[100:101], v[136:137], v[134:135]
	v_pk_add_f32 v[110:111], v[136:137], v[134:135] neg_lo:[0,1] neg_hi:[0,1]
	v_pk_fma_f32 v[100:101], v[100:101], 0.5, v[102:103] op_sel_hi:[1,0,1] neg_lo:[1,0,0] neg_hi:[1,0,0]
	v_pk_mul_f32 v[110:111], v[110:111], s[0:1] op_sel_hi:[1,0]
	v_pk_add_f32 v[102:103], v[102:103], v[136:137]
	v_pk_add_f32 v[138:139], v[100:101], v[110:111] op_sel:[0,1] op_sel_hi:[1,0]
	v_pk_add_f32 v[100:101], v[100:101], v[110:111] op_sel:[0,1] op_sel_hi:[1,0] neg_lo:[0,1] neg_hi:[0,1]
	v_pk_add_f32 v[110:111], v[106:107], v[122:123]
	v_pk_add_f32 v[106:107], v[106:107], v[122:123] neg_lo:[0,1] neg_hi:[0,1]
	v_pk_fma_f32 v[104:105], v[110:111], 0.5, v[104:105] op_sel_hi:[1,0,1] neg_lo:[1,0,0] neg_hi:[1,0,0]
	v_pk_mul_f32 v[106:107], v[106:107], s[0:1] op_sel_hi:[1,0]
	v_pk_add_f32 v[102:103], v[102:103], v[134:135]
	v_pk_add_f32 v[110:111], v[104:105], v[106:107] op_sel:[0,1] op_sel_hi:[1,0]
	v_pk_add_f32 v[104:105], v[104:105], v[106:107] op_sel:[0,1] op_sel_hi:[1,0] neg_lo:[0,1] neg_hi:[0,1]
	ds_write_b64 v214, v[102:103]
	v_mov_b32_e32 v102, v138
	v_mov_b32_e32 v103, v101
	;; [unrolled: 1-line block ×6, first 2 shown]
	ds_write2_b64 v98, v[102:103], v[106:107] offset0:71 offset1:162
	ds_write2_b64 v4, v[100:101], v[104:105] offset0:142 offset1:233
	;; [unrolled: 1-line block ×3, first 2 shown]
	v_pk_add_f32 v[0:1], v[124:125], v[128:129]
	v_pk_add_f32 v[100:101], v[124:125], v[128:129] neg_lo:[0,1] neg_hi:[0,1]
	v_pk_fma_f32 v[0:1], v[0:1], 0.5, v[112:113] op_sel_hi:[1,0,1] neg_lo:[1,0,0] neg_hi:[1,0,0]
	v_pk_mul_f32 v[100:101], v[100:101], s[0:1] op_sel_hi:[1,0]
	v_mov_b32_e32 v95, v99
	v_pk_add_f32 v[102:103], v[0:1], v[100:101] op_sel:[0,1] op_sel_hi:[1,0]
	v_pk_add_f32 v[0:1], v[0:1], v[100:101] op_sel:[0,1] op_sel_hi:[1,0] neg_lo:[0,1] neg_hi:[0,1]
	v_mov_b32_e32 v100, v102
	v_mov_b32_e32 v101, v1
	;; [unrolled: 1-line block ×3, first 2 shown]
	ds_write_b64 v214, v[100:101] offset:5096
	ds_write_b64 v214, v[0:1] offset:8736
	;; [unrolled: 1-line block ×3, first 2 shown]
	v_pk_add_f32 v[0:1], v[130:131], v[126:127]
	v_pk_add_f32 v[100:101], v[130:131], v[126:127] neg_lo:[0,1] neg_hi:[0,1]
	v_pk_fma_f32 v[0:1], v[0:1], 0.5, v[114:115] op_sel_hi:[1,0,1] neg_lo:[1,0,0] neg_hi:[1,0,0]
	v_pk_mul_f32 v[100:101], v[100:101], s[0:1] op_sel_hi:[1,0]
	s_mov_b64 s[0:1], 0x2aa8
	v_pk_add_f32 v[102:103], v[0:1], v[100:101] op_sel:[0,1] op_sel_hi:[1,0]
	v_pk_add_f32 v[0:1], v[0:1], v[100:101] op_sel:[0,1] op_sel_hi:[1,0] neg_lo:[0,1] neg_hi:[0,1]
	v_mov_b32_e32 v100, v102
	v_mov_b32_e32 v101, v1
	;; [unrolled: 1-line block ×3, first 2 shown]
	ds_write_b64 v214, v[100:101] offset:5824
	ds_write_b64 v214, v[0:1] offset:9464
	;; [unrolled: 1-line block ×4, first 2 shown]
	v_add_co_u32_e32 v0, vcc, s14, v96
	ds_write_b64 v214, v[94:95] offset:10192
	s_nop 0
	v_addc_co_u32_e32 v1, vcc, 0, v97, vcc
	s_waitcnt lgkmcnt(0)
	s_barrier
	global_load_dwordx2 v[104:105], v[0:1], off offset:2728
	v_lshl_add_u64 v[0:1], v[96:97], 0, s[0:1]
	global_load_dwordx2 v[110:111], v[0:1], off offset:840
	global_load_dwordx2 v[112:113], v[0:1], off offset:1680
	;; [unrolled: 1-line block ×4, first 2 shown]
	s_movk_i32 s0, 0x3000
	v_add_co_u32_e32 v100, vcc, s0, v96
	s_movk_i32 s0, 0x4000
	s_nop 0
	v_addc_co_u32_e32 v101, vcc, 0, v97, vcc
	global_load_dwordx2 v[120:121], v[100:101], off offset:2832
	global_load_dwordx2 v[122:123], v[100:101], off offset:3672
	v_add_co_u32_e32 v100, vcc, s0, v96
	s_nop 1
	v_addc_co_u32_e32 v101, vcc, 0, v97, vcc
	global_load_dwordx2 v[124:125], v[100:101], off offset:416
	global_load_dwordx2 v[126:127], v[100:101], off offset:1256
	;; [unrolled: 1-line block ×5, first 2 shown]
	v_add_co_u32_e32 v96, vcc, 0x5000, v96
	ds_read2_b64 v[100:103], v214 offset1:105
	s_nop 0
	v_addc_co_u32_e32 v97, vcc, 0, v97, vcc
	global_load_dwordx2 v[96:97], v[96:97], off offset:520
	s_waitcnt vmcnt(12) lgkmcnt(0)
	v_mul_f32_e32 v4, v101, v105
	v_mul_f32_e32 v135, v100, v105
	v_fma_f32 v134, v100, v104, -v4
	v_fmac_f32_e32 v135, v101, v104
	ds_read2_b64 v[104:107], v2 offset0:82 offset1:187
	s_waitcnt vmcnt(11)
	v_mul_f32_e32 v4, v103, v111
	v_mul_f32_e32 v101, v102, v111
	v_fma_f32 v100, v102, v110, -v4
	v_fmac_f32_e32 v101, v103, v110
	ds_write2_b64 v214, v[134:135], v[100:101] offset1:105
	s_waitcnt vmcnt(10) lgkmcnt(1)
	v_mul_f32_e32 v4, v105, v113
	v_mul_f32_e32 v111, v104, v113
	v_add_u32_e32 v100, 0xc00, v214
	v_fma_f32 v110, v104, v112, -v4
	v_fmac_f32_e32 v111, v105, v112
	ds_read2_b64 v[102:105], v100 offset0:36 offset1:141
	s_waitcnt vmcnt(9)
	v_mul_f32_e32 v4, v107, v115
	v_mul_f32_e32 v113, v106, v115
	v_fma_f32 v112, v106, v114, -v4
	v_fmac_f32_e32 v113, v107, v114
	ds_write2_b64 v2, v[110:111], v[112:113] offset0:82 offset1:187
	ds_read2_b64 v[110:113], v3 offset0:118 offset1:223
	s_waitcnt vmcnt(8) lgkmcnt(2)
	v_mul_f32_e32 v4, v103, v119
	v_mul_f32_e32 v107, v102, v119
	v_fma_f32 v106, v102, v118, -v4
	v_fmac_f32_e32 v107, v103, v118
	s_waitcnt vmcnt(7)
	v_mul_f32_e32 v4, v105, v121
	v_mul_f32_e32 v103, v104, v121
	v_fma_f32 v102, v104, v120, -v4
	v_fmac_f32_e32 v103, v105, v120
	ds_write2_b64 v100, v[106:107], v[102:103] offset0:36 offset1:141
	ds_read2_b64 v[102:105], v108 offset0:72 offset1:177
	s_waitcnt vmcnt(6) lgkmcnt(2)
	v_mul_f32_e32 v4, v111, v123
	v_mul_f32_e32 v107, v110, v123
	v_fma_f32 v106, v110, v122, -v4
	v_fmac_f32_e32 v107, v111, v122
	;; [unrolled: 12-line block ×3, first 2 shown]
	s_waitcnt vmcnt(3)
	v_mul_f32_e32 v4, v105, v129
	v_mul_f32_e32 v103, v104, v129
	v_fma_f32 v102, v104, v128, -v4
	v_fmac_f32_e32 v103, v105, v128
	ds_read_b64 v[104:105], v214 offset:10080
	s_waitcnt vmcnt(2) lgkmcnt(1)
	v_mul_f32_e32 v4, v111, v131
	ds_write2_b64 v108, v[106:107], v[102:103] offset0:72 offset1:177
	v_fma_f32 v102, v110, v130, -v4
	v_mul_f32_e32 v103, v110, v131
	s_waitcnt vmcnt(1)
	v_mul_f32_e32 v4, v113, v133
	v_mul_f32_e32 v107, v112, v133
	v_fmac_f32_e32 v103, v111, v130
	v_fma_f32 v106, v112, v132, -v4
	v_fmac_f32_e32 v107, v113, v132
	ds_write2_b64 v116, v[102:103], v[106:107] offset0:26 offset1:131
	s_waitcnt vmcnt(0) lgkmcnt(2)
	v_mul_f32_e32 v4, v105, v97
	v_mul_f32_e32 v103, v104, v97
	v_fma_f32 v102, v104, v96, -v4
	v_fmac_f32_e32 v103, v105, v96
	ds_write_b64 v214, v[102:103] offset:10080
	s_and_saveexec_b64 s[0:1], s[6:7]
	s_cbranch_execz .LBB0_13
; %bb.12:
	v_add_co_u32_e32 v102, vcc, s15, v0
	global_load_dwordx2 v[96:97], v[0:1], off offset:728
	global_load_dwordx2 v[106:107], v[0:1], off offset:1568
	;; [unrolled: 1-line block ×5, first 2 shown]
	v_addc_co_u32_e32 v103, vcc, 0, v1, vcc
	v_add_co_u32_e32 v0, vcc, s14, v0
	global_load_dwordx2 v[138:139], v[102:103], off offset:832
	global_load_dwordx2 v[140:141], v[102:103], off offset:1672
	;; [unrolled: 1-line block ×4, first 2 shown]
	v_addc_co_u32_e32 v1, vcc, 0, v1, vcc
	global_load_dwordx2 v[146:147], v[0:1], off offset:96
	global_load_dwordx2 v[148:149], v[0:1], off offset:936
	;; [unrolled: 1-line block ×3, first 2 shown]
	s_nop 0
	global_load_dwordx2 v[0:1], v[0:1], off offset:2616
	ds_read2_b64 v[102:105], v215 offset0:91 offset1:196
	ds_read2_b64 v[110:113], v98 offset0:127 offset1:232
	v_add_u32_e32 v4, 0x800, v215
	v_add_u32_e32 v5, 0x1400, v215
	;; [unrolled: 1-line block ×4, first 2 shown]
	ds_read_b64 v[152:153], v215 offset:10808
	ds_read2_b64 v[118:121], v4 offset0:45 offset1:150
	ds_read2_b64 v[122:125], v5 offset0:81 offset1:186
	;; [unrolled: 1-line block ×4, first 2 shown]
	s_waitcnt vmcnt(12) lgkmcnt(6)
	v_mul_f32_e32 v99, v103, v97
	v_mul_f32_e32 v155, v102, v97
	s_waitcnt vmcnt(11)
	v_mul_f32_e32 v101, v105, v107
	v_mul_f32_e32 v97, v104, v107
	s_waitcnt vmcnt(10) lgkmcnt(3)
	v_mul_f32_e32 v109, v119, v115
	v_mul_f32_e32 v107, v118, v115
	s_waitcnt vmcnt(9)
	v_mul_f32_e32 v117, v121, v135
	v_mul_f32_e32 v115, v120, v135
	s_waitcnt vmcnt(8)
	v_mul_f32_e32 v156, v111, v137
	v_mul_f32_e32 v135, v110, v137
	v_fma_f32 v154, v102, v96, -v99
	v_fmac_f32_e32 v155, v103, v96
	v_fma_f32 v96, v104, v106, -v101
	v_fmac_f32_e32 v97, v105, v106
	;; [unrolled: 2-line block ×5, first 2 shown]
	s_waitcnt vmcnt(7)
	v_mul_f32_e32 v99, v113, v139
	v_mul_f32_e32 v103, v112, v139
	s_waitcnt vmcnt(6) lgkmcnt(2)
	v_mul_f32_e32 v101, v123, v141
	v_mul_f32_e32 v105, v122, v141
	s_waitcnt vmcnt(2) lgkmcnt(0)
	v_mul_f32_e32 v136, v131, v149
	v_mul_f32_e32 v137, v130, v149
	s_waitcnt vmcnt(1)
	v_mul_f32_e32 v141, v133, v151
	v_mul_f32_e32 v139, v132, v151
	ds_write2_b64 v215, v[154:155], v[96:97] offset0:91 offset1:196
	ds_write2_b64 v4, v[106:107], v[114:115] offset0:45 offset1:150
	s_waitcnt vmcnt(0)
	v_mul_f32_e32 v4, v153, v1
	v_mul_f32_e32 v97, v152, v1
	;; [unrolled: 1-line block ×8, first 2 shown]
	v_fma_f32 v102, v112, v138, -v99
	v_fmac_f32_e32 v103, v113, v138
	v_fma_f32 v136, v130, v148, -v136
	v_fmac_f32_e32 v137, v131, v148
	;; [unrolled: 2-line block ×8, first 2 shown]
	ds_write2_b64 v98, v[134:135], v[102:103] offset0:127 offset1:232
	ds_write2_b64 v5, v[104:105], v[110:111] offset0:81 offset1:186
	;; [unrolled: 1-line block ×4, first 2 shown]
	ds_write_b64 v215, v[96:97] offset:10808
.LBB0_13:
	s_or_b64 exec, exec, s[0:1]
	s_waitcnt lgkmcnt(0)
	s_barrier
	ds_read2_b64 v[96:99], v214 offset1:105
	ds_read2_b64 v[112:115], v2 offset0:82 offset1:187
	ds_read2_b64 v[104:107], v100 offset0:36 offset1:141
	;; [unrolled: 1-line block ×5, first 2 shown]
	ds_read_b64 v[244:245], v214 offset:10080
	s_and_saveexec_b64 s[0:1], s[6:7]
	s_cbranch_execz .LBB0_15
; %bb.14:
	v_add_u32_e32 v0, 0xc00, v215
	ds_read2_b64 v[84:87], v0 offset0:127 offset1:232
	v_add_u32_e32 v0, 0x1400, v215
	ds_read2_b64 v[80:83], v0 offset0:81 offset1:186
	;; [unrolled: 2-line block ×5, first 2 shown]
	ds_read2_b64 v[216:219], v0 offset0:117 offset1:222
	ds_read_b64 v[210:211], v215 offset:10808
.LBB0_15:
	s_or_b64 exec, exec, s[0:1]
	s_waitcnt lgkmcnt(0)
	v_pk_add_f32 v[142:143], v[94:95], v[210:211] neg_lo:[0,1] neg_hi:[0,1]
	s_mov_b32 s44, 0xbeedf032
	v_pk_add_f32 v[132:133], v[210:211], v[94:95]
	v_pk_add_f32 v[140:141], v[88:89], v[218:219] neg_lo:[0,1] neg_hi:[0,1]
	s_mov_b32 s16, 0x3f62ad3f
	v_pk_mul_f32 v[0:1], v[142:143], s[44:45] op_sel_hi:[1,0]
	s_mov_b32 s34, 0xbf52af12
	v_pk_add_f32 v[120:121], v[218:219], v[88:89]
	v_pk_fma_f32 v[168:169], v[132:133], s[16:17], v[0:1] op_sel:[0,0,1] op_sel_hi:[1,0,0]
	v_pk_fma_f32 v[4:5], v[132:133], s[16:17], v[0:1] op_sel:[0,0,1] op_sel_hi:[1,0,0] neg_lo:[0,0,1] neg_hi:[0,0,1]
	s_mov_b32 s0, 0x3f116cb1
	v_pk_mul_f32 v[0:1], v[140:141], s[34:35] op_sel_hi:[1,0]
	s_mov_b32 s18, 0xbf6f5d39
	v_pk_fma_f32 v[170:171], v[120:121], s[0:1], v[0:1] op_sel:[0,0,1] op_sel_hi:[1,0,0]
	v_pk_fma_f32 v[6:7], v[120:121], s[0:1], v[0:1] op_sel:[0,0,1] op_sel_hi:[1,0,0] neg_lo:[0,0,1] neg_hi:[0,0,1]
	v_pk_mul_f32 v[0:1], v[142:143], s[34:35] op_sel_hi:[1,0]
	v_pk_add_f32 v[136:137], v[90:91], v[216:217] neg_lo:[0,1] neg_hi:[0,1]
	v_pk_fma_f32 v[156:157], v[132:133], s[0:1], v[0:1] op_sel:[0,0,1] op_sel_hi:[1,0,0]
	v_pk_fma_f32 v[144:145], v[132:133], s[0:1], v[0:1] op_sel:[0,0,1] op_sel_hi:[1,0,0] neg_lo:[0,0,1] neg_hi:[0,0,1]
	s_mov_b32 s14, 0xbeb58ec6
	v_pk_mul_f32 v[0:1], v[140:141], s[18:19] op_sel_hi:[1,0]
	s_mov_b32 s28, 0xbe750f2a
	v_pk_add_f32 v[134:135], v[216:217], v[90:91]
	v_pk_add_f32 v[126:127], v[86:87], v[220:221] neg_lo:[0,1] neg_hi:[0,1]
	v_pk_fma_f32 v[158:159], v[120:121], s[14:15], v[0:1] op_sel:[0,0,1] op_sel_hi:[1,0,0]
	v_pk_fma_f32 v[146:147], v[120:121], s[14:15], v[0:1] op_sel:[0,0,1] op_sel_hi:[1,0,0] neg_lo:[0,0,1] neg_hi:[0,0,1]
	s_mov_b32 s26, 0xbf788fa5
	v_pk_mul_f32 v[0:1], v[136:137], s[28:29] op_sel_hi:[1,0]
	s_mov_b32 s22, 0x3f7e222b
	v_pk_add_f32 v[124:125], v[220:221], v[86:87]
	;; [unrolled: 7-line block ×3, first 2 shown]
	v_pk_fma_f32 v[172:173], v[124:125], s[20:21], v[0:1] op_sel:[0,0,1] op_sel_hi:[1,0,0]
	v_pk_fma_f32 v[164:165], v[124:125], s[20:21], v[0:1] op_sel:[0,0,1] op_sel_hi:[1,0,0] neg_lo:[0,0,1] neg_hi:[0,0,1]
	v_pk_mul_f32 v[0:1], v[122:123], s[30:31] op_sel_hi:[1,0]
	s_mov_b32 s40, 0xbf7e222b
	v_pk_fma_f32 v[174:175], v[152:153], s[16:17], v[0:1] op_sel:[0,0,1] op_sel_hi:[1,0,0]
	v_pk_fma_f32 v[166:167], v[152:153], s[16:17], v[0:1] op_sel:[0,0,1] op_sel_hi:[1,0,0] neg_lo:[0,0,1] neg_hi:[0,0,1]
	v_pk_mul_f32 v[0:1], v[142:143], s[40:41] op_sel_hi:[1,0]
	v_pk_add_f32 v[130:131], v[84:85], v[222:223] neg_lo:[0,1] neg_hi:[0,1]
	v_pk_fma_f32 v[138:139], v[132:133], s[20:21], v[0:1] op_sel:[0,0,1] op_sel_hi:[1,0,0]
	v_pk_fma_f32 v[150:151], v[132:133], s[20:21], v[0:1] op_sel:[0,0,1] op_sel_hi:[1,0,0] neg_lo:[0,0,1] neg_hi:[0,0,1]
	v_accvgpr_write_b32 a37, v139
	v_mov_b32_e32 v0, v138
	v_pk_mul_f32 v[138:139], v[140:141], s[28:29] op_sel_hi:[1,0]
	v_accvgpr_write_b32 a50, v150
	v_mov_b32_e32 v1, v151
	v_pk_fma_f32 v[150:151], v[120:121], s[26:27], v[138:139] op_sel:[0,0,1] op_sel_hi:[1,0,0]
	v_pk_fma_f32 v[154:155], v[120:121], s[26:27], v[138:139] op_sel:[0,0,1] op_sel_hi:[1,0,0] neg_lo:[0,0,1] neg_hi:[0,0,1]
	v_pk_add_f32 v[0:1], v[92:93], v[0:1]
	v_mov_b32_e32 v138, v150
	v_mov_b32_e32 v139, v155
	v_pk_add_f32 v[0:1], v[138:139], v[0:1]
	v_pk_mul_f32 v[138:139], v[136:137], s[42:43] op_sel_hi:[1,0]
	v_accvgpr_write_b32 a39, v151
	v_accvgpr_write_b32 a52, v154
	v_pk_fma_f32 v[150:151], v[134:135], s[14:15], v[138:139] op_sel:[0,0,1] op_sel_hi:[1,0,0]
	v_pk_fma_f32 v[154:155], v[134:135], s[14:15], v[138:139] op_sel:[0,0,1] op_sel_hi:[1,0,0] neg_lo:[0,0,1] neg_hi:[0,0,1]
	v_mov_b32_e32 v138, v150
	v_mov_b32_e32 v139, v155
	v_pk_add_f32 v[128:129], v[222:223], v[84:85]
	v_pk_add_f32 v[0:1], v[138:139], v[0:1]
	v_pk_mul_f32 v[138:139], v[130:131], s[30:31] op_sel_hi:[1,0]
	v_accvgpr_write_b32 a45, v151
	v_accvgpr_write_b32 a54, v154
	v_pk_fma_f32 v[150:151], v[128:129], s[16:17], v[138:139] op_sel:[0,0,1] op_sel_hi:[1,0,0]
	v_pk_fma_f32 v[154:155], v[128:129], s[16:17], v[138:139] op_sel:[0,0,1] op_sel_hi:[1,0,0] neg_lo:[0,0,1] neg_hi:[0,0,1]
	v_mov_b32_e32 v138, v150
	v_mov_b32_e32 v139, v155
	v_pk_add_f32 v[0:1], v[138:139], v[0:1]
	v_pk_mul_f32 v[138:139], v[126:127], s[34:35] op_sel_hi:[1,0]
	v_accvgpr_write_b32 a47, v151
	v_accvgpr_write_b32 a56, v154
	v_pk_fma_f32 v[150:151], v[124:125], s[0:1], v[138:139] op_sel:[0,0,1] op_sel_hi:[1,0,0]
	v_pk_fma_f32 v[154:155], v[124:125], s[0:1], v[138:139] op_sel:[0,0,1] op_sel_hi:[1,0,0] neg_lo:[0,0,1] neg_hi:[0,0,1]
	v_mov_b32_e32 v138, v150
	v_mov_b32_e32 v139, v155
	s_mov_b32 s36, 0xbf29c268
	s_mov_b32 s24, 0xbf3f9e67
	v_pk_add_f32 v[0:1], v[138:139], v[0:1]
	v_pk_mul_f32 v[138:139], v[122:123], s[36:37] op_sel_hi:[1,0]
	v_accvgpr_write_b32 a51, v151
	v_accvgpr_write_b32 a58, v154
	v_pk_fma_f32 v[150:151], v[152:153], s[24:25], v[138:139] op_sel:[0,0,1] op_sel_hi:[1,0,0]
	v_pk_fma_f32 v[154:155], v[152:153], s[24:25], v[138:139] op_sel:[0,0,1] op_sel_hi:[1,0,0] neg_lo:[0,0,1] neg_hi:[0,0,1]
	v_mov_b32_e32 v138, v150
	v_mov_b32_e32 v139, v155
	v_pk_add_f32 v[0:1], v[138:139], v[0:1]
	s_mov_b32 s38, 0x3f29c268
	v_accvgpr_write_b32 a119, v1
	v_accvgpr_write_b32 a118, v0
	v_pk_mul_f32 v[0:1], v[142:143], s[18:19] op_sel_hi:[1,0]
	v_accvgpr_write_b32 a66, v220
	v_pk_fma_f32 v[138:139], v[132:133], s[14:15], v[0:1] op_sel:[0,0,1] op_sel_hi:[1,0,0]
	v_accvgpr_write_b32 a67, v221
	v_accvgpr_write_b32 a68, v222
	;; [unrolled: 1-line block ×3, first 2 shown]
	v_pk_fma_f32 v[220:221], v[132:133], s[14:15], v[0:1] op_sel:[0,0,1] op_sel_hi:[1,0,0] neg_lo:[0,0,1] neg_hi:[0,0,1]
	v_pk_mul_f32 v[0:1], v[140:141], s[38:39] op_sel_hi:[1,0]
	v_accvgpr_write_b32 a57, v151
	v_pk_fma_f32 v[150:151], v[120:121], s[24:25], v[0:1] op_sel:[0,0,1] op_sel_hi:[1,0,0]
	v_pk_fma_f32 v[222:223], v[120:121], s[24:25], v[0:1] op_sel:[0,0,1] op_sel_hi:[1,0,0] neg_lo:[0,0,1] neg_hi:[0,0,1]
	v_pk_mul_f32 v[0:1], v[136:137], s[30:31] op_sel_hi:[1,0]
	v_accvgpr_write_b32 a62, v154
	v_pk_fma_f32 v[154:155], v[134:135], s[16:17], v[0:1] op_sel:[0,0,1] op_sel_hi:[1,0,0]
	v_pk_fma_f32 v[224:225], v[134:135], s[16:17], v[0:1] op_sel:[0,0,1] op_sel_hi:[1,0,0] neg_lo:[0,0,1] neg_hi:[0,0,1]
	v_mov_b32_e32 v0, v138
	v_mov_b32_e32 v1, v145
	v_accvgpr_write_b32 a59, v139
	v_pk_add_f32 v[0:1], v[92:93], v[0:1]
	v_mov_b32_e32 v138, v150
	v_mov_b32_e32 v139, v147
	v_pk_mul_f32 v[162:163], v[128:129], s[24:25] op_sel_hi:[1,0]
	v_pk_mul_f32 v[178:179], v[128:129], s[20:21] op_sel_hi:[1,0]
	v_pk_add_f32 v[0:1], v[138:139], v[0:1]
	v_mov_b32_e32 v138, v154
	v_mov_b32_e32 v139, v149
	v_pk_mul_f32 v[176:177], v[130:131], s[38:39] op_sel_hi:[1,0]
	v_pk_add_f32 v[0:1], v[138:139], v[0:1]
	v_mov_b32_e32 v138, v163
	v_mov_b32_e32 v139, v178
	s_mov_b32 s39, s40
	v_accvgpr_write_b32 a40, v144
	v_pk_fma_f32 v[144:145], v[130:131], s[38:39], v[138:139] neg_lo:[1,0,0] neg_hi:[1,0,0]
	v_pk_fma_f32 v[138:139], v[130:131], s[38:39], v[138:139]
	v_pk_mul_f32 v[180:181], v[130:131], s[40:41] op_sel_hi:[1,0]
	v_mov_b32_e32 v145, v139
	v_mov_b32_e32 v138, v156
	;; [unrolled: 1-line block ×3, first 2 shown]
	v_pk_add_f32 v[0:1], v[144:145], v[0:1] op_sel:[0,1] op_sel_hi:[1,0]
	v_pk_add_f32 v[138:139], v[92:93], v[138:139]
	v_mov_b32_e32 v144, v158
	v_mov_b32_e32 v145, v223
	v_pk_add_f32 v[138:139], v[144:145], v[138:139]
	v_mov_b32_e32 v144, v160
	v_mov_b32_e32 v145, v225
	s_mov_b32 s25, s20
	v_pk_mul_f32 v[194:195], v[140:141], s[22:23] op_sel_hi:[1,0]
	v_pk_mul_f32 v[140:141], v[140:141], s[30:31] op_sel_hi:[1,0]
	v_accvgpr_write_b32 a63, v151
	v_accvgpr_write_b32 a42, v146
	;; [unrolled: 1-line block ×3, first 2 shown]
	v_pk_add_f32 v[138:139], v[144:145], v[138:139]
	v_pk_fma_f32 v[144:145], v[128:129], s[24:25], v[176:177] op_sel:[0,0,1] op_sel_hi:[1,1,0]
	v_pk_fma_f32 v[146:147], v[128:129], s[24:25], v[180:181] op_sel:[0,0,1] op_sel_hi:[1,1,0] neg_lo:[0,0,1] neg_hi:[0,0,1]
	v_pk_mul_f32 v[192:193], v[142:143], s[36:37] op_sel_hi:[1,0]
	v_pk_mul_f32 v[142:143], v[142:143], s[28:29] op_sel_hi:[1,0]
	v_pk_fma_f32 v[150:151], v[120:121], s[16:17], v[140:141] op_sel:[0,0,1] op_sel_hi:[1,0,0]
	v_pk_fma_f32 v[154:155], v[120:121], s[16:17], v[140:141] op_sel:[0,0,1] op_sel_hi:[1,0,0] neg_lo:[0,0,1] neg_hi:[0,0,1]
	v_accvgpr_write_b32 a44, v148
	v_mov_b32_e32 v145, v147
	v_pk_fma_f32 v[146:147], v[132:133], s[26:27], v[142:143] op_sel:[0,0,1] op_sel_hi:[1,0,0]
	v_pk_fma_f32 v[148:149], v[132:133], s[26:27], v[142:143] op_sel:[0,0,1] op_sel_hi:[1,0,0] neg_lo:[0,0,1] neg_hi:[0,0,1]
	v_mov_b32_e32 v151, v155
	v_pk_mul_f32 v[154:155], v[136:137], s[36:37] op_sel_hi:[1,0]
	v_accvgpr_write_b32 a49, v157
	v_accvgpr_write_b32 a53, v159
	v_mov_b32_e32 v147, v149
	v_pk_fma_f32 v[156:157], v[134:135], s[24:25], v[154:155] op_sel:[0,0,1] op_sel_hi:[1,0,0]
	v_pk_fma_f32 v[158:159], v[134:135], s[24:25], v[154:155] op_sel:[0,0,1] op_sel_hi:[1,0,0] neg_lo:[0,0,1] neg_hi:[0,0,1]
	v_accvgpr_write_b32 a60, v162
	s_mov_b32 s48, 0x3e750f2a
	v_pk_add_f32 v[146:147], v[92:93], v[146:147]
	v_mov_b32_e32 v157, v159
	v_pk_mul_f32 v[158:159], v[130:131], s[46:47] op_sel_hi:[1,0]
	v_accvgpr_write_b32 a61, v163
	v_accvgpr_write_b32 a55, v161
	;; [unrolled: 1-line block ×3, first 2 shown]
	v_pk_add_f32 v[138:139], v[144:145], v[138:139]
	v_pk_mul_f32 v[144:145], v[126:127], s[48:49] op_sel_hi:[1,0]
	v_pk_add_f32 v[146:147], v[150:151], v[146:147]
	v_pk_fma_f32 v[160:161], v[128:129], s[0:1], v[158:159] op_sel:[0,0,1] op_sel_hi:[1,0,0]
	v_pk_fma_f32 v[162:163], v[128:129], s[0:1], v[158:159] op_sel:[0,0,1] op_sel_hi:[1,0,0] neg_lo:[0,0,1] neg_hi:[0,0,1]
	v_accvgpr_write_b32 a72, v178
	v_accvgpr_write_b32 a65, v177
	v_pk_fma_f32 v[176:177], v[124:125], s[26:27], v[144:145] op_sel:[0,0,1] op_sel_hi:[1,0,0]
	v_pk_fma_f32 v[238:239], v[124:125], s[26:27], v[144:145] op_sel:[0,0,1] op_sel_hi:[1,0,0] neg_lo:[0,0,1] neg_hi:[0,0,1]
	v_pk_mul_f32 v[144:145], v[122:123], s[46:47] op_sel_hi:[1,0]
	v_pk_add_f32 v[146:147], v[156:157], v[146:147]
	v_mov_b32_e32 v161, v163
	v_accvgpr_write_b32 a73, v179
	v_accvgpr_write_b32 a74, v180
	v_pk_fma_f32 v[178:179], v[152:153], s[0:1], v[144:145] op_sel:[0,0,1] op_sel_hi:[1,0,0]
	v_pk_fma_f32 v[240:241], v[152:153], s[0:1], v[144:145] op_sel:[0,0,1] op_sel_hi:[1,0,0] neg_lo:[0,0,1] neg_hi:[0,0,1]
	v_pk_mul_f32 v[186:187], v[128:129], s[26:27] op_sel_hi:[1,0]
	v_pk_mul_f32 v[144:145], v[132:133], s[26:27] op_sel_hi:[1,0]
	v_pk_add_f32 v[146:147], v[160:161], v[146:147]
	s_mov_b32 s27, s24
	v_mov_b32_e32 v160, v143
	v_mov_b32_e32 v161, v192
	v_accvgpr_write_b32 a75, v181
	v_pk_mul_f32 v[180:181], v[132:133], s[24:25] op_sel_hi:[1,0]
	v_pk_mul_f32 v[188:189], v[124:125], s[16:17] op_sel_hi:[1,0]
	;; [unrolled: 1-line block ×3, first 2 shown]
	v_pk_fma_f32 v[132:133], v[132:133], s[26:27], v[160:161] neg_lo:[0,0,1] neg_hi:[0,0,1]
	s_mov_b32 s17, s20
	v_mov_b32_e32 v160, v141
	v_mov_b32_e32 v161, v194
	v_pk_mul_f32 v[182:183], v[120:121], s[20:21] op_sel_hi:[1,0]
	v_pk_mul_f32 v[196:197], v[136:137], s[34:35] op_sel_hi:[1,0]
	v_pk_add_f32 v[132:133], v[92:93], v[132:133]
	v_pk_fma_f32 v[120:121], v[120:121], s[16:17], v[160:161] neg_lo:[0,0,1] neg_hi:[0,0,1]
	v_pk_mul_f32 v[150:151], v[134:135], s[24:25] op_sel_hi:[1,0]
	v_pk_add_f32 v[120:121], v[120:121], v[132:133]
	s_mov_b32 s25, s0
	v_mov_b32_e32 v132, v155
	v_mov_b32_e32 v133, v196
	v_pk_mul_f32 v[198:199], v[130:131], s[48:49] op_sel_hi:[1,0]
	v_pk_fma_f32 v[132:133], v[134:135], s[24:25], v[132:133] neg_lo:[0,0,1] neg_hi:[0,0,1]
	v_pk_mul_f32 v[184:185], v[134:135], s[0:1] op_sel_hi:[1,0]
	v_pk_mul_f32 v[156:157], v[128:129], s[0:1] op_sel_hi:[1,0]
	v_pk_add_f32 v[120:121], v[132:133], v[120:121]
	s_mov_b32 s1, s26
	v_mov_b32_e32 v132, v159
	v_mov_b32_e32 v133, v198
	v_pk_fma_f32 v[132:133], v[128:129], s[0:1], v[132:133] neg_lo:[0,0,1] neg_hi:[0,0,1]
	v_mov_b32_e32 v143, v180
	v_pk_add_f32 v[120:121], v[132:133], v[120:121]
	v_mov_b32_e32 v132, v145
	v_mov_b32_e32 v133, v193
	v_mov_b32_e32 v2, v93
	v_mov_b32_e32 v3, v92
	v_pk_add_f32 v[132:133], v[142:143], v[132:133]
	v_mov_b32_e32 v141, v182
	v_pk_add_f32 v[2:3], v[2:3], v[132:133]
	v_mov_b32_e32 v132, v149
	v_mov_b32_e32 v133, v195
	v_pk_add_f32 v[132:133], v[140:141], v[132:133]
	v_pk_mul_f32 v[140:141], v[126:127], s[18:19] op_sel_hi:[1,0]
	v_pk_add_f32 v[2:3], v[132:133], v[2:3]
	v_pk_fma_f32 v[142:143], v[124:125], s[14:15], v[140:141] op_sel:[0,0,1] op_sel_hi:[1,0,0]
	v_pk_fma_f32 v[144:145], v[124:125], s[14:15], v[140:141] op_sel:[0,0,1] op_sel_hi:[1,0,0] neg_lo:[0,0,1] neg_hi:[0,0,1]
	v_mov_b32_e32 v132, v151
	v_mov_b32_e32 v143, v145
	v_pk_add_f32 v[142:143], v[142:143], v[146:147]
	v_pk_mul_f32 v[146:147], v[122:123], s[22:23] op_sel_hi:[1,0]
	v_mov_b32_e32 v155, v184
	v_pk_fma_f32 v[148:149], v[152:153], s[20:21], v[146:147] op_sel:[0,0,1] op_sel_hi:[1,0,0]
	v_pk_fma_f32 v[150:151], v[152:153], s[20:21], v[146:147] op_sel:[0,0,1] op_sel_hi:[1,0,0] neg_lo:[0,0,1] neg_hi:[0,0,1]
	v_mov_b32_e32 v133, v197
	v_mov_b32_e32 v149, v151
	v_pk_add_f32 v[132:133], v[154:155], v[132:133]
	v_pk_add_f32 v[142:143], v[148:149], v[142:143]
	;; [unrolled: 1-line block ×3, first 2 shown]
	v_mov_b32_e32 v159, v186
	v_mov_b32_e32 v132, v157
	;; [unrolled: 1-line block ×3, first 2 shown]
	v_accvgpr_write_b32 a114, v142
	v_pk_add_f32 v[132:133], v[158:159], v[132:133]
	v_accvgpr_write_b32 a115, v143
	v_mov_b32_e32 v142, v168
	v_mov_b32_e32 v143, v5
	v_pk_mul_f32 v[136:137], v[136:137], s[40:41] op_sel_hi:[1,0]
	v_pk_mul_f32 v[190:191], v[152:153], s[14:15] op_sel_hi:[1,0]
	v_pk_add_f32 v[2:3], v[132:133], v[2:3]
	v_pk_mul_f32 v[132:133], v[124:125], s[14:15] op_sel_hi:[1,0]
	s_mov_b32 s15, s16
	v_accvgpr_write_b32 a36, v4
	v_pk_add_f32 v[142:143], v[92:93], v[142:143]
	v_mov_b32_e32 v148, v170
	v_mov_b32_e32 v149, v7
	v_pk_fma_f32 v[4:5], v[134:135], s[20:21], v[136:137] op_sel:[0,0,1] op_sel_hi:[1,0,0]
	v_pk_fma_f32 v[204:205], v[134:135], s[20:21], v[136:137] op_sel:[0,0,1] op_sel_hi:[1,0,0] neg_lo:[0,0,1] neg_hi:[0,0,1]
	v_pk_mul_f32 v[130:131], v[130:131], s[18:19] op_sel_hi:[1,0]
	v_accvgpr_write_b32 a108, v210
	v_pk_mul_f32 v[200:201], v[126:127], s[30:31] op_sel_hi:[1,0]
	v_pk_add_f32 v[142:143], v[148:149], v[142:143]
	v_accvgpr_write_b32 a101, v5
	v_mov_b32_e32 v134, v4
	v_mov_b32_e32 v135, v205
	v_pk_fma_f32 v[4:5], v[128:129], s[14:15], v[130:131] op_sel:[0,0,1] op_sel_hi:[1,0,0]
	v_accvgpr_write_b32 a109, v211
	v_pk_fma_f32 v[210:211], v[128:129], s[14:15], v[130:131] op_sel:[0,0,1] op_sel_hi:[1,0,0] neg_lo:[0,0,1] neg_hi:[0,0,1]
	v_pk_mul_f32 v[126:127], v[126:127], s[36:37] op_sel_hi:[1,0]
	v_accvgpr_write_b32 a110, v216
	v_mov_b32_e32 v144, v141
	v_mov_b32_e32 v145, v200
	v_pk_add_f32 v[134:135], v[134:135], v[142:143]
	v_accvgpr_write_b32 a103, v5
	v_mov_b32_e32 v128, v4
	v_mov_b32_e32 v129, v211
	v_pk_fma_f32 v[4:5], v[124:125], s[24:25], v[126:127] op_sel:[0,0,1] op_sel_hi:[1,0,0]
	v_accvgpr_write_b32 a111, v217
	v_accvgpr_write_b32 a112, v218
	;; [unrolled: 1-line block ×3, first 2 shown]
	v_pk_fma_f32 v[216:217], v[124:125], s[24:25], v[126:127] op_sel:[0,0,1] op_sel_hi:[1,0,0] neg_lo:[0,0,1] neg_hi:[0,0,1]
	v_pk_fma_f32 v[144:145], v[124:125], s[14:15], v[144:145] neg_lo:[0,0,1] neg_hi:[0,0,1]
	v_pk_add_f32 v[128:129], v[128:129], v[134:135]
	v_mov_b32_e32 v124, v4
	v_mov_b32_e32 v125, v217
	v_pk_add_f32 v[124:125], v[124:125], v[128:129]
	v_pk_mul_f32 v[128:129], v[122:123], s[28:29] op_sel_hi:[1,0]
	v_accvgpr_write_b32 a105, v5
	v_pk_fma_f32 v[4:5], v[152:153], s[26:27], v[128:129] op_sel:[0,0,1] op_sel_hi:[1,0,0]
	v_pk_fma_f32 v[232:233], v[152:153], s[26:27], v[128:129] op_sel:[0,0,1] op_sel_hi:[1,0,0] neg_lo:[0,0,1] neg_hi:[0,0,1]
	v_mov_b32_e32 v126, v165
	v_mov_b32_e32 v127, v176
	;; [unrolled: 1-line block ×7, first 2 shown]
	v_pk_add_f32 v[0:1], v[126:127], v[0:1]
	v_mov_b32_e32 v126, v172
	v_mov_b32_e32 v127, v239
	v_accvgpr_write_b32 a107, v5
	v_pk_add_f32 v[4:5], v[128:129], v[124:125]
	v_mov_b32_e32 v124, v167
	v_mov_b32_e32 v125, v178
	v_pk_add_f32 v[132:133], v[140:141], v[132:133]
	v_pk_mul_f32 v[140:141], v[152:153], s[20:21] op_sel_hi:[1,0]
	v_mov_b32_e32 v217, v177
	v_pk_add_f32 v[126:127], v[126:127], v[138:139]
	v_pk_add_f32 v[176:177], v[124:125], v[0:1]
	v_mov_b32_e32 v0, v174
	v_mov_b32_e32 v1, v241
	;; [unrolled: 1-line block ×3, first 2 shown]
	v_pk_add_f32 v[174:175], v[0:1], v[126:127]
	v_mov_b32_e32 v0, v141
	v_mov_b32_e32 v1, v190
	s_mov_b32 s23, s18
	v_pk_add_f32 v[246:247], v[96:97], v[98:99]
	v_pk_add_f32 v[2:3], v[132:133], v[2:3]
	v_pk_fma_f32 v[0:1], v[122:123], s[22:23], v[0:1]
	v_mov_b32_e32 v205, v173
	v_pk_add_f32 v[226:227], v[0:1], v[2:3]
	v_pk_add_f32 v[0:1], v[246:247], v[112:113]
	v_pk_add_f32 v[172:173], v[98:99], v[244:245] neg_lo:[0,1] neg_hi:[0,1]
	v_pk_add_f32 v[0:1], v[0:1], v[114:115]
	v_accvgpr_write_b32 a76, v180
	v_pk_add_f32 v[0:1], v[0:1], v[104:105]
	v_accvgpr_write_b32 a43, v171
	;; [unrolled: 2-line block ×3, first 2 shown]
	v_pk_add_f32 v[0:1], v[0:1], v[100:101]
	v_pk_add_f32 v[170:171], v[244:245], v[98:99]
	;; [unrolled: 1-line block ×3, first 2 shown]
	v_pk_mul_f32 v[2:3], v[172:173], s[44:45] op_sel_hi:[1,0]
	v_pk_add_f32 v[0:1], v[0:1], v[108:109]
	v_pk_add_f32 v[234:235], v[112:113], v[118:119] neg_lo:[0,1] neg_hi:[0,1]
	v_pk_add_f32 v[0:1], v[0:1], v[110:111]
	v_accvgpr_write_b32 a77, v181
	v_pk_add_f32 v[0:1], v[0:1], v[116:117]
	v_accvgpr_write_b32 a116, v4
	v_pk_add_f32 v[0:1], v[0:1], v[118:119]
	v_pk_fma_f32 v[4:5], v[170:171], s[16:17], v[2:3] op_sel:[0,0,1] op_sel_hi:[1,0,0]
	v_pk_add_f32 v[0:1], v[0:1], v[244:245]
	v_pk_fma_f32 v[244:245], v[170:171], s[16:17], v[2:3] op_sel:[0,0,1] op_sel_hi:[1,0,0] neg_lo:[0,0,1] neg_hi:[0,0,1]
	v_pk_add_f32 v[180:181], v[118:119], v[112:113]
	v_pk_mul_f32 v[98:99], v[234:235], s[34:35] op_sel_hi:[1,0]
	v_mov_b32_e32 v2, v4
	v_mov_b32_e32 v221, v5
	;; [unrolled: 1-line block ×3, first 2 shown]
	v_pk_fma_f32 v[4:5], v[180:181], s[0:1], v[98:99] op_sel:[0,0,1] op_sel_hi:[1,0,0]
	v_pk_fma_f32 v[118:119], v[180:181], s[0:1], v[98:99] op_sel:[0,0,1] op_sel_hi:[1,0,0] neg_lo:[0,0,1] neg_hi:[0,0,1]
	v_accvgpr_write_b32 a41, v169
	v_pk_add_f32 v[2:3], v[96:97], v[2:3]
	v_mov_b32_e32 v98, v4
	v_mov_b32_e32 v99, v119
	v_pk_add_f32 v[168:169], v[114:115], v[116:117] neg_lo:[0,1] neg_hi:[0,1]
	s_mov_b32 s21, s14
	v_pk_add_f32 v[2:3], v[98:99], v[2:3]
	v_pk_add_f32 v[242:243], v[116:117], v[114:115]
	v_pk_mul_f32 v[98:99], v[168:169], s[40:41] op_sel_hi:[1,0]
	v_mov_b32_e32 v223, v5
	v_pk_fma_f32 v[4:5], v[242:243], s[20:21], v[98:99] op_sel:[0,0,1] op_sel_hi:[1,0,0]
	v_pk_fma_f32 v[116:117], v[242:243], s[20:21], v[98:99] op_sel:[0,0,1] op_sel_hi:[1,0,0] neg_lo:[0,0,1] neg_hi:[0,0,1]
	v_mov_b32_e32 v98, v4
	v_mov_b32_e32 v99, v117
	v_pk_add_f32 v[250:251], v[104:105], v[110:111] neg_lo:[0,1] neg_hi:[0,1]
	v_accvgpr_write_b32 a48, v166
	v_pk_add_f32 v[2:3], v[98:99], v[2:3]
	v_pk_add_f32 v[166:167], v[110:111], v[104:105]
	v_pk_mul_f32 v[98:99], v[250:251], s[18:19] op_sel_hi:[1,0]
	v_accvgpr_write_b32 a88, v192
	v_mov_b32_e32 v225, v5
	v_pk_fma_f32 v[4:5], v[166:167], s[14:15], v[98:99] op_sel:[0,0,1] op_sel_hi:[1,0,0]
	v_pk_fma_f32 v[110:111], v[166:167], s[14:15], v[98:99] op_sel:[0,0,1] op_sel_hi:[1,0,0] neg_lo:[0,0,1] neg_hi:[0,0,1]
	v_accvgpr_write_b32 a89, v193
	v_accvgpr_write_b32 a80, v184
	v_mov_b32_e32 v98, v4
	v_mov_b32_e32 v99, v111
	v_pk_add_f32 v[192:193], v[106:107], v[108:109] neg_lo:[0,1] neg_hi:[0,1]
	v_pk_mul_f32 v[202:203], v[122:123], s[18:19] op_sel_hi:[1,0]
	v_accvgpr_write_b32 a81, v185
	v_pk_add_f32 v[2:3], v[98:99], v[2:3]
	v_pk_add_f32 v[184:185], v[108:109], v[106:107]
	v_pk_mul_f32 v[98:99], v[192:193], s[36:37] op_sel_hi:[1,0]
	v_accvgpr_write_b32 a98, v202
	v_mov_b32_e32 v239, v5
	v_pk_fma_f32 v[4:5], v[184:185], s[24:25], v[98:99] op_sel:[0,0,1] op_sel_hi:[1,0,0]
	v_pk_fma_f32 v[108:109], v[184:185], s[24:25], v[98:99] op_sel:[0,0,1] op_sel_hi:[1,0,0] neg_lo:[0,0,1] neg_hi:[0,0,1]
	v_accvgpr_write_b32 a92, v196
	v_accvgpr_write_b32 a99, v203
	v_mov_b32_e32 v123, v202
	v_mov_b32_e32 v98, v4
	;; [unrolled: 1-line block ×3, first 2 shown]
	v_pk_add_f32 v[202:203], v[100:101], v[102:103] neg_lo:[0,1] neg_hi:[0,1]
	v_accvgpr_write_b32 a93, v197
	v_pk_add_f32 v[2:3], v[98:99], v[2:3]
	v_pk_add_f32 v[196:197], v[102:103], v[100:101]
	v_pk_mul_f32 v[98:99], v[202:203], s[28:29] op_sel_hi:[1,0]
	v_mov_b32_e32 v241, v5
	v_pk_fma_f32 v[4:5], v[196:197], s[26:27], v[98:99] op_sel:[0,0,1] op_sel_hi:[1,0,0]
	v_pk_fma_f32 v[102:103], v[196:197], s[26:27], v[98:99] op_sel:[0,0,1] op_sel_hi:[1,0,0] neg_lo:[0,0,1] neg_hi:[0,0,1]
	v_mov_b32_e32 v98, v4
	v_mov_b32_e32 v99, v103
	v_pk_add_f32 v[2:3], v[98:99], v[2:3]
	s_barrier
	ds_write2_b64 v209, v[0:1], v[2:3] offset1:1
	v_pk_mul_f32 v[0:1], v[172:173], s[34:35] op_sel_hi:[1,0]
	v_pk_mul_f32 v[2:3], v[234:235], s[18:19] op_sel_hi:[1,0]
	v_pk_fma_f32 v[114:115], v[170:171], s[0:1], v[0:1] op_sel:[0,0,1] op_sel_hi:[1,0,0]
	v_pk_fma_f32 v[246:247], v[170:171], s[0:1], v[0:1] op_sel:[0,0,1] op_sel_hi:[1,0,0] neg_lo:[0,0,1] neg_hi:[0,0,1]
	v_mov_b32_e32 v0, v114
	v_mov_b32_e32 v1, v247
	v_pk_fma_f32 v[112:113], v[180:181], s[14:15], v[2:3] op_sel:[0,0,1] op_sel_hi:[1,0,0]
	v_pk_fma_f32 v[228:229], v[180:181], s[14:15], v[2:3] op_sel:[0,0,1] op_sel_hi:[1,0,0] neg_lo:[0,0,1] neg_hi:[0,0,1]
	v_pk_add_f32 v[0:1], v[96:97], v[0:1]
	v_mov_b32_e32 v2, v112
	v_mov_b32_e32 v3, v229
	;; [unrolled: 1-line block ×3, first 2 shown]
	v_pk_add_f32 v[0:1], v[2:3], v[0:1]
	v_pk_mul_f32 v[2:3], v[168:169], s[28:29] op_sel_hi:[1,0]
	v_pk_fma_f32 v[122:123], v[152:153], s[20:21], v[122:123] neg_lo:[0,0,1] neg_hi:[0,0,1]
	v_pk_fma_f32 v[106:107], v[242:243], s[26:27], v[2:3] op_sel:[0,0,1] op_sel_hi:[1,0,0]
	v_pk_fma_f32 v[152:153], v[242:243], s[26:27], v[2:3] op_sel:[0,0,1] op_sel_hi:[1,0,0] neg_lo:[0,0,1] neg_hi:[0,0,1]
	v_mov_b32_e32 v2, v106
	v_mov_b32_e32 v3, v153
	v_pk_add_f32 v[0:1], v[2:3], v[0:1]
	v_pk_mul_f32 v[2:3], v[250:251], s[38:39] op_sel_hi:[1,0]
	v_pk_add_f32 v[120:121], v[144:145], v[120:121]
	v_pk_fma_f32 v[104:105], v[166:167], s[24:25], v[2:3] op_sel:[0,0,1] op_sel_hi:[1,0,0]
	v_pk_fma_f32 v[206:207], v[166:167], s[24:25], v[2:3] op_sel:[0,0,1] op_sel_hi:[1,0,0] neg_lo:[0,0,1] neg_hi:[0,0,1]
	v_mov_b32_e32 v2, v104
	v_mov_b32_e32 v3, v207
	v_pk_add_f32 v[0:1], v[2:3], v[0:1]
	v_pk_mul_f32 v[2:3], v[192:193], s[22:23] op_sel_hi:[1,0]
	v_accvgpr_write_b32 a78, v182
	v_pk_fma_f32 v[100:101], v[184:185], s[20:21], v[2:3] op_sel:[0,0,1] op_sel_hi:[1,0,0]
	v_pk_fma_f32 v[230:231], v[184:185], s[20:21], v[2:3] op_sel:[0,0,1] op_sel_hi:[1,0,0] neg_lo:[0,0,1] neg_hi:[0,0,1]
	v_mov_b32_e32 v2, v100
	v_mov_b32_e32 v3, v231
	v_pk_add_f32 v[0:1], v[2:3], v[0:1]
	v_pk_mul_f32 v[2:3], v[202:203], s[30:31] op_sel_hi:[1,0]
	v_pk_add_f32 v[218:219], v[122:123], v[120:121]
	v_pk_fma_f32 v[98:99], v[196:197], s[16:17], v[2:3] op_sel:[0,0,1] op_sel_hi:[1,0,0]
	v_pk_fma_f32 v[248:249], v[196:197], s[16:17], v[2:3] op_sel:[0,0,1] op_sel_hi:[1,0,0] neg_lo:[0,0,1] neg_hi:[0,0,1]
	v_mov_b32_e32 v2, v98
	v_mov_b32_e32 v3, v249
	v_pk_add_f32 v[0:1], v[2:3], v[0:1]
	v_pk_mul_f32 v[2:3], v[172:173], s[40:41] op_sel_hi:[1,0]
	v_pk_mul_f32 v[120:121], v[234:235], s[28:29] op_sel_hi:[1,0]
	v_pk_fma_f32 v[254:255], v[170:171], s[20:21], v[2:3] op_sel:[0,0,1] op_sel_hi:[1,0,0]
	v_pk_fma_f32 v[252:253], v[170:171], s[20:21], v[2:3] op_sel:[0,0,1] op_sel_hi:[1,0,0] neg_lo:[0,0,1] neg_hi:[0,0,1]
	v_accvgpr_write_b32 a79, v183
	v_mov_b32_e32 v233, v179
	v_mov_b32_e32 v2, v254
	;; [unrolled: 1-line block ×3, first 2 shown]
	v_pk_fma_f32 v[182:183], v[180:181], s[26:27], v[120:121] op_sel:[0,0,1] op_sel_hi:[1,0,0]
	v_pk_fma_f32 v[178:179], v[180:181], s[26:27], v[120:121] op_sel:[0,0,1] op_sel_hi:[1,0,0] neg_lo:[0,0,1] neg_hi:[0,0,1]
	v_pk_add_f32 v[2:3], v[96:97], v[2:3]
	v_mov_b32_e32 v120, v182
	v_mov_b32_e32 v121, v179
	v_accvgpr_write_b32 a96, v200
	v_pk_add_f32 v[2:3], v[120:121], v[2:3]
	v_pk_mul_f32 v[120:121], v[168:169], s[42:43] op_sel_hi:[1,0]
	v_accvgpr_write_b32 a97, v201
	v_pk_fma_f32 v[122:123], v[242:243], s[14:15], v[120:121] op_sel:[0,0,1] op_sel_hi:[1,0,0]
	v_pk_fma_f32 v[200:201], v[242:243], s[14:15], v[120:121] op_sel:[0,0,1] op_sel_hi:[1,0,0] neg_lo:[0,0,1] neg_hi:[0,0,1]
	v_mov_b32_e32 v120, v122
	v_mov_b32_e32 v121, v201
	v_pk_add_f32 v[2:3], v[120:121], v[2:3]
	v_pk_mul_f32 v[120:121], v[250:251], s[30:31] op_sel_hi:[1,0]
	v_accvgpr_write_b32 a82, v186
	v_pk_fma_f32 v[126:127], v[166:167], s[16:17], v[120:121] op_sel:[0,0,1] op_sel_hi:[1,0,0]
	v_pk_fma_f32 v[124:125], v[166:167], s[16:17], v[120:121] op_sel:[0,0,1] op_sel_hi:[1,0,0] neg_lo:[0,0,1] neg_hi:[0,0,1]
	v_mov_b32_e32 v120, v126
	v_mov_b32_e32 v121, v125
	;; [unrolled: 7-line block ×4, first 2 shown]
	v_pk_add_f32 v[2:3], v[120:121], v[2:3]
	ds_write2_b64 v209, v[0:1], v[2:3] offset0:2 offset1:3
	v_pk_mul_f32 v[0:1], v[172:173], s[18:19] op_sel_hi:[1,0]
	v_pk_mul_f32 v[2:3], v[234:235], s[38:39] op_sel_hi:[1,0]
	v_pk_fma_f32 v[150:151], v[170:171], s[14:15], v[0:1] op_sel:[0,0,1] op_sel_hi:[1,0,0]
	v_pk_fma_f32 v[142:143], v[170:171], s[14:15], v[0:1] op_sel:[0,0,1] op_sel_hi:[1,0,0] neg_lo:[0,0,1] neg_hi:[0,0,1]
	v_mov_b32_e32 v0, v150
	v_mov_b32_e32 v1, v143
	v_pk_fma_f32 v[144:145], v[180:181], s[24:25], v[2:3] op_sel:[0,0,1] op_sel_hi:[1,0,0]
	v_pk_fma_f32 v[140:141], v[180:181], s[24:25], v[2:3] op_sel:[0,0,1] op_sel_hi:[1,0,0] neg_lo:[0,0,1] neg_hi:[0,0,1]
	v_pk_add_f32 v[0:1], v[96:97], v[0:1]
	v_mov_b32_e32 v2, v144
	v_mov_b32_e32 v3, v141
	v_pk_add_f32 v[0:1], v[2:3], v[0:1]
	v_pk_mul_f32 v[2:3], v[168:169], s[30:31] op_sel_hi:[1,0]
	v_accvgpr_write_b32 a84, v188
	v_pk_fma_f32 v[148:149], v[242:243], s[16:17], v[2:3] op_sel:[0,0,1] op_sel_hi:[1,0,0]
	v_pk_fma_f32 v[146:147], v[242:243], s[16:17], v[2:3] op_sel:[0,0,1] op_sel_hi:[1,0,0] neg_lo:[0,0,1] neg_hi:[0,0,1]
	v_mov_b32_e32 v2, v148
	v_mov_b32_e32 v3, v147
	v_pk_add_f32 v[0:1], v[2:3], v[0:1]
	v_pk_mul_f32 v[2:3], v[250:251], s[40:41] op_sel_hi:[1,0]
	v_accvgpr_write_b32 a86, v190
	v_pk_fma_f32 v[186:187], v[166:167], s[20:21], v[2:3] op_sel:[0,0,1] op_sel_hi:[1,0,0]
	v_pk_fma_f32 v[164:165], v[166:167], s[20:21], v[2:3] op_sel:[0,0,1] op_sel_hi:[1,0,0] neg_lo:[0,0,1] neg_hi:[0,0,1]
	v_mov_b32_e32 v2, v186
	v_mov_b32_e32 v3, v165
	v_pk_add_f32 v[0:1], v[2:3], v[0:1]
	v_pk_mul_f32 v[2:3], v[192:193], s[48:49] op_sel_hi:[1,0]
	v_accvgpr_write_b32 a85, v189
	v_accvgpr_write_b32 a87, v191
	v_pk_fma_f32 v[190:191], v[184:185], s[26:27], v[2:3] op_sel:[0,0,1] op_sel_hi:[1,0,0]
	v_pk_fma_f32 v[188:189], v[184:185], s[26:27], v[2:3] op_sel:[0,0,1] op_sel_hi:[1,0,0] neg_lo:[0,0,1] neg_hi:[0,0,1]
	v_mov_b32_e32 v2, v190
	v_mov_b32_e32 v3, v189
	v_accvgpr_write_b32 a90, v194
	v_accvgpr_write_b32 a94, v198
	v_pk_add_f32 v[0:1], v[2:3], v[0:1]
	v_pk_mul_f32 v[2:3], v[202:203], s[46:47] op_sel_hi:[1,0]
	v_accvgpr_write_b32 a91, v195
	v_accvgpr_write_b32 a95, v199
	v_pk_fma_f32 v[198:199], v[196:197], s[0:1], v[2:3] op_sel:[0,0,1] op_sel_hi:[1,0,0]
	v_pk_fma_f32 v[194:195], v[196:197], s[0:1], v[2:3] op_sel:[0,0,1] op_sel_hi:[1,0,0] neg_lo:[0,0,1] neg_hi:[0,0,1]
	v_mov_b32_e32 v2, v198
	v_mov_b32_e32 v3, v195
	v_accvgpr_write_b32 a121, v5
	v_pk_add_f32 v[4:5], v[2:3], v[0:1]
	v_pk_mul_f32 v[0:1], v[172:173], s[36:37] op_sel_hi:[1,0]
	v_pk_mul_f32 v[2:3], v[234:235], s[22:23] op_sel_hi:[1,0]
	v_pk_fma_f32 v[158:159], v[170:171], s[24:25], v[0:1] op_sel:[0,0,1] op_sel_hi:[1,0,0]
	v_pk_fma_f32 v[120:121], v[170:171], s[24:25], v[0:1] op_sel:[0,0,1] op_sel_hi:[1,0,0] neg_lo:[0,0,1] neg_hi:[0,0,1]
	v_mov_b32_e32 v0, v158
	v_mov_b32_e32 v1, v121
	v_pk_fma_f32 v[132:133], v[180:181], s[20:21], v[2:3] op_sel:[0,0,1] op_sel_hi:[1,0,0]
	v_pk_fma_f32 v[154:155], v[180:181], s[20:21], v[2:3] op_sel:[0,0,1] op_sel_hi:[1,0,0] neg_lo:[0,0,1] neg_hi:[0,0,1]
	v_pk_add_f32 v[0:1], v[96:97], v[0:1]
	v_mov_b32_e32 v2, v132
	v_mov_b32_e32 v3, v155
	v_pk_add_f32 v[0:1], v[2:3], v[0:1]
	v_pk_mul_f32 v[2:3], v[168:169], s[34:35] op_sel_hi:[1,0]
	v_mov_b32_e32 v98, v209
	v_pk_fma_f32 v[156:157], v[242:243], s[0:1], v[2:3] op_sel:[0,0,1] op_sel_hi:[1,0,0]
	v_pk_fma_f32 v[138:139], v[242:243], s[0:1], v[2:3] op_sel:[0,0,1] op_sel_hi:[1,0,0] neg_lo:[0,0,1] neg_hi:[0,0,1]
	v_mov_b32_e32 v2, v156
	v_mov_b32_e32 v3, v139
	v_pk_add_f32 v[0:1], v[2:3], v[0:1]
	v_pk_mul_f32 v[2:3], v[250:251], s[48:49] op_sel_hi:[1,0]
	v_accvgpr_write_b32 a38, v6
	v_pk_fma_f32 v[208:209], v[166:167], s[26:27], v[2:3] op_sel:[0,0,1] op_sel_hi:[1,0,0]
	v_pk_fma_f32 v[160:161], v[166:167], s[26:27], v[2:3] op_sel:[0,0,1] op_sel_hi:[1,0,0] neg_lo:[0,0,1] neg_hi:[0,0,1]
	v_mov_b32_e32 v2, v208
	v_mov_b32_e32 v3, v161
	v_pk_mul_f32 v[6:7], v[192:193], s[30:31] op_sel_hi:[1,0]
	v_pk_add_f32 v[2:3], v[2:3], v[0:1]
	v_pk_fma_f32 v[0:1], v[184:185], s[16:17], v[6:7] op_sel:[0,0,1] op_sel_hi:[1,0,0]
	v_pk_fma_f32 v[236:237], v[184:185], s[16:17], v[6:7] op_sel:[0,0,1] op_sel_hi:[1,0,0] neg_lo:[0,0,1] neg_hi:[0,0,1]
	v_mov_b32_e32 v6, v0
	v_mov_b32_e32 v7, v237
	v_pk_add_f32 v[6:7], v[6:7], v[2:3]
	v_pk_mul_f32 v[2:3], v[202:203], s[18:19] op_sel_hi:[1,0]
	v_pk_mul_f32 v[168:169], v[168:169], s[36:37] op_sel_hi:[1,0]
	v_pk_fma_f32 v[212:213], v[196:197], s[14:15], v[2:3] op_sel:[0,0,1] op_sel_hi:[1,0,0]
	v_pk_fma_f32 v[2:3], v[196:197], s[14:15], v[2:3] op_sel:[0,0,1] op_sel_hi:[1,0,0] neg_lo:[0,0,1] neg_hi:[0,0,1]
	v_mov_b32_e32 v162, v212
	v_mov_b32_e32 v163, v3
	v_pk_add_f32 v[6:7], v[162:163], v[6:7]
	ds_write2_b64 v98, v[4:5], v[6:7] offset0:4 offset1:5
	v_pk_mul_f32 v[4:5], v[172:173], s[28:29] op_sel_hi:[1,0]
	v_pk_mul_f32 v[192:193], v[192:193], s[18:19] op_sel_hi:[1,0]
	v_pk_fma_f32 v[6:7], v[170:171], s[26:27], v[4:5] op_sel:[0,0,1] op_sel_hi:[1,0,0]
	v_pk_fma_f32 v[4:5], v[170:171], s[26:27], v[4:5] op_sel:[0,0,1] op_sel_hi:[1,0,0] neg_lo:[0,0,1] neg_hi:[0,0,1]
	v_pk_mul_f32 v[170:171], v[234:235], s[30:31] op_sel_hi:[1,0]
	v_mov_b32_e32 v162, v6
	v_mov_b32_e32 v163, v5
	v_pk_fma_f32 v[172:173], v[180:181], s[16:17], v[170:171] op_sel:[0,0,1] op_sel_hi:[1,0,0]
	v_pk_fma_f32 v[170:171], v[180:181], s[16:17], v[170:171] op_sel:[0,0,1] op_sel_hi:[1,0,0] neg_lo:[0,0,1] neg_hi:[0,0,1]
	v_pk_add_f32 v[162:163], v[96:97], v[162:163]
	v_mov_b32_e32 v180, v172
	v_mov_b32_e32 v181, v171
	v_pk_add_f32 v[162:163], v[180:181], v[162:163]
	v_pk_fma_f32 v[180:181], v[242:243], s[24:25], v[168:169] op_sel:[0,0,1] op_sel_hi:[1,0,0]
	v_pk_fma_f32 v[168:169], v[242:243], s[24:25], v[168:169] op_sel:[0,0,1] op_sel_hi:[1,0,0] neg_lo:[0,0,1] neg_hi:[0,0,1]
	v_mov_b32_e32 v234, v180
	v_mov_b32_e32 v235, v169
	v_pk_add_f32 v[162:163], v[234:235], v[162:163]
	v_pk_mul_f32 v[234:235], v[250:251], s[46:47] op_sel_hi:[1,0]
	v_mov_b32_e32 v5, v7
	v_pk_fma_f32 v[242:243], v[166:167], s[0:1], v[234:235] op_sel:[0,0,1] op_sel_hi:[1,0,0]
	v_pk_fma_f32 v[166:167], v[166:167], s[0:1], v[234:235] op_sel:[0,0,1] op_sel_hi:[1,0,0] neg_lo:[0,0,1] neg_hi:[0,0,1]
	v_mov_b32_e32 v234, v242
	v_mov_b32_e32 v235, v167
	v_pk_add_f32 v[162:163], v[234:235], v[162:163]
	v_pk_fma_f32 v[234:235], v[184:185], s[14:15], v[192:193] op_sel:[0,0,1] op_sel_hi:[1,0,0]
	v_pk_fma_f32 v[184:185], v[184:185], s[14:15], v[192:193] op_sel:[0,0,1] op_sel_hi:[1,0,0] neg_lo:[0,0,1] neg_hi:[0,0,1]
	v_pk_add_f32 v[4:5], v[96:97], v[4:5]
	v_mov_b32_e32 v171, v173
	v_mov_b32_e32 v192, v234
	v_mov_b32_e32 v193, v185
	v_pk_add_f32 v[4:5], v[170:171], v[4:5]
	v_mov_b32_e32 v169, v181
	v_pk_add_f32 v[162:163], v[192:193], v[162:163]
	v_pk_mul_f32 v[192:193], v[202:203], s[22:23] op_sel_hi:[1,0]
	v_pk_add_f32 v[4:5], v[168:169], v[4:5]
	v_mov_b32_e32 v167, v243
	v_pk_fma_f32 v[202:203], v[196:197], s[20:21], v[192:193] op_sel:[0,0,1] op_sel_hi:[1,0,0]
	v_pk_fma_f32 v[192:193], v[196:197], s[20:21], v[192:193] op_sel:[0,0,1] op_sel_hi:[1,0,0] neg_lo:[0,0,1] neg_hi:[0,0,1]
	v_pk_add_f32 v[4:5], v[166:167], v[4:5]
	v_mov_b32_e32 v185, v235
	v_mov_b32_e32 v196, v202
	;; [unrolled: 1-line block ×3, first 2 shown]
	v_pk_add_f32 v[4:5], v[184:185], v[4:5]
	v_mov_b32_e32 v193, v203
	v_pk_add_f32 v[162:163], v[196:197], v[162:163]
	v_pk_add_f32 v[4:5], v[192:193], v[4:5]
	v_mov_b32_e32 v121, v159
	ds_write2_b64 v98, v[162:163], v[4:5] offset0:6 offset1:7
	v_pk_add_f32 v[4:5], v[96:97], v[120:121]
	v_mov_b32_e32 v155, v133
	v_pk_add_f32 v[4:5], v[154:155], v[4:5]
	v_mov_b32_e32 v139, v157
	;; [unrolled: 2-line block ×5, first 2 shown]
	v_mov_b32_e32 v143, v151
	v_pk_add_f32 v[0:1], v[2:3], v[0:1]
	v_pk_add_f32 v[2:3], v[96:97], v[142:143]
	v_mov_b32_e32 v141, v145
	v_pk_add_f32 v[2:3], v[140:141], v[2:3]
	v_mov_b32_e32 v147, v149
	;; [unrolled: 2-line block ×6, first 2 shown]
	v_mov_b32_e32 v247, v115
	ds_write2_b64 v98, v[0:1], v[2:3] offset0:8 offset1:9
	v_pk_add_f32 v[0:1], v[96:97], v[252:253]
	v_mov_b32_e32 v179, v183
	v_pk_add_f32 v[2:3], v[96:97], v[246:247]
	v_mov_b32_e32 v229, v113
	;; [unrolled: 2-line block ×10, first 2 shown]
	v_pk_add_f32 v[0:1], v[134:135], v[0:1]
	v_pk_add_f32 v[2:3], v[248:249], v[2:3]
	v_mov_b32_e32 v245, v221
	ds_write2_b64 v98, v[0:1], v[2:3] offset0:10 offset1:11
	v_pk_add_f32 v[0:1], v[96:97], v[244:245]
	v_mov_b32_e32 v119, v223
	v_pk_add_f32 v[0:1], v[118:119], v[0:1]
	v_mov_b32_e32 v117, v225
	;; [unrolled: 2-line block ×4, first 2 shown]
	v_accvgpr_read_b32 v185, a119
	v_accvgpr_read_b32 v187, a115
	;; [unrolled: 1-line block ×3, first 2 shown]
	v_pk_add_f32 v[0:1], v[108:109], v[0:1]
	v_accvgpr_read_b32 v103, a121
	v_accvgpr_read_b32 v184, a118
	;; [unrolled: 1-line block ×4, first 2 shown]
	v_pk_add_f32 v[0:1], v[102:103], v[0:1]
	ds_write_b64 v98, v[0:1] offset:96
	s_and_saveexec_b64 s[0:1], s[6:7]
	s_cbranch_execz .LBB0_17
; %bb.16:
	v_accvgpr_read_b32 v107, a77
	v_accvgpr_read_b32 v4, a89
	;; [unrolled: 1-line block ×4, first 2 shown]
	v_pk_add_f32 v[104:105], v[106:107], v[4:5] neg_lo:[0,1] neg_hi:[0,1]
	v_pk_add_f32 v[4:5], v[106:107], v[4:5]
	v_accvgpr_read_b32 v107, a79
	v_accvgpr_read_b32 v6, a91
	v_accvgpr_read_b32 v7, a90
	v_accvgpr_read_b32 v106, a78
	v_mov_b32_e32 v105, v5
	v_pk_add_f32 v[4:5], v[106:107], v[6:7] neg_lo:[0,1] neg_hi:[0,1]
	v_pk_add_f32 v[6:7], v[106:107], v[6:7]
	v_accvgpr_read_b32 v107, a81
	v_accvgpr_read_b32 v96, a93
	v_accvgpr_read_b32 v97, a92
	v_accvgpr_read_b32 v106, a80
	v_mov_b32_e32 v5, v7
	;; [unrolled: 7-line block ×7, first 2 shown]
	v_pk_add_f32 v[2:3], v[106:107], v[0:1] neg_lo:[0,1] neg_hi:[0,1]
	v_pk_add_f32 v[0:1], v[106:107], v[0:1]
	v_pk_add_f32 v[94:95], v[94:95], v[92:93]
	v_mov_b32_e32 v3, v1
	v_accvgpr_read_b32 v0, a13
	v_accvgpr_read_b32 v1, a35
	v_lshl_add_u32 v106, v1, 3, v0
	v_pk_add_f32 v[0:1], v[88:89], v[94:95]
	v_accvgpr_read_b32 v221, a59
	v_pk_add_f32 v[0:1], v[90:91], v[0:1]
	v_accvgpr_read_b32 v223, a63
	;; [unrolled: 2-line block ×3, first 2 shown]
	v_pk_add_f32 v[0:1], v[86:87], v[0:1]
	v_mov_b32_e32 v239, v217
	v_pk_add_f32 v[0:1], v[80:81], v[0:1]
	v_mov_b32_e32 v241, v233
	v_pk_add_f32 v[0:1], v[82:83], v[0:1]
	v_accvgpr_read_b32 v83, a69
	v_accvgpr_read_b32 v81, a67
	;; [unrolled: 1-line block ×4, first 2 shown]
	v_pk_add_f32 v[0:1], v[80:81], v[0:1]
	v_accvgpr_read_b32 v112, a40
	v_pk_add_f32 v[0:1], v[82:83], v[0:1]
	v_accvgpr_read_b32 v80, a110
	v_accvgpr_read_b32 v81, a111
	;; [unrolled: 1-line block ×4, first 2 shown]
	v_pk_add_f32 v[0:1], v[80:81], v[0:1]
	v_accvgpr_read_b32 v80, a108
	v_pk_add_f32 v[0:1], v[82:83], v[0:1]
	v_accvgpr_read_b32 v81, a109
	v_pk_add_f32 v[0:1], v[80:81], v[0:1]
	ds_write2_b64 v106, v[0:1], v[188:189] offset1:1
	v_mov_b32_e32 v0, v174
	v_mov_b32_e32 v1, v176
	ds_write2_b64 v106, v[0:1], v[184:185] offset0:2 offset1:3
	v_mov_b32_e32 v0, v177
	v_mov_b32_e32 v1, v175
	;; [unrolled: 1-line block ×4, first 2 shown]
	ds_write2_b64 v106, v[0:1], v[80:81] offset0:4 offset1:5
	v_mov_b32_e32 v0, v218
	v_mov_b32_e32 v1, v226
	ds_write2_b64 v106, v[186:187], v[0:1] offset0:6 offset1:7
	v_pk_add_f32 v[0:1], v[92:93], v[104:105]
	v_accvgpr_read_b32 v113, a49
	v_pk_add_f32 v[0:1], v[4:5], v[0:1]
	v_pk_add_f32 v[4:5], v[92:93], v[220:221]
	;; [unrolled: 1-line block ×10, first 2 shown]
	v_accvgpr_read_b32 v114, a42
	v_pk_add_f32 v[4:5], v[240:241], v[4:5]
	ds_write2_b64 v106, v[0:1], v[4:5] offset0:8 offset1:9
	v_accvgpr_read_b32 v0, a50
	v_accvgpr_read_b32 v1, a37
	v_pk_add_f32 v[0:1], v[92:93], v[0:1]
	v_accvgpr_read_b32 v4, a52
	v_accvgpr_read_b32 v5, a39
	v_pk_add_f32 v[0:1], v[4:5], v[0:1]
	;; [unrolled: 3-line block ×5, first 2 shown]
	v_accvgpr_read_b32 v4, a62
	v_accvgpr_read_b32 v5, a57
	;; [unrolled: 1-line block ×3, first 2 shown]
	v_pk_add_f32 v[0:1], v[4:5], v[0:1]
	v_pk_add_f32 v[4:5], v[92:93], v[112:113]
	v_accvgpr_read_b32 v116, a44
	v_accvgpr_read_b32 v117, a55
	v_pk_add_f32 v[4:5], v[114:115], v[4:5]
	v_accvgpr_read_b32 v118, a46
	v_pk_add_f32 v[4:5], v[116:117], v[4:5]
	v_mov_b32_e32 v119, v205
	v_pk_add_f32 v[2:3], v[2:3], v[4:5]
	v_accvgpr_read_b32 v120, a48
	v_mov_b32_e32 v121, v211
	v_pk_add_f32 v[2:3], v[118:119], v[2:3]
	v_accvgpr_read_b32 v108, a36
	v_accvgpr_read_b32 v109, a41
	v_pk_add_f32 v[2:3], v[120:121], v[2:3]
	v_accvgpr_read_b32 v110, a38
	v_accvgpr_read_b32 v111, a43
	ds_write2_b64 v106, v[0:1], v[2:3] offset0:10 offset1:11
	v_pk_add_f32 v[0:1], v[92:93], v[108:109]
	v_accvgpr_read_b32 v205, a101
	v_pk_add_f32 v[0:1], v[110:111], v[0:1]
	v_accvgpr_read_b32 v211, a103
	;; [unrolled: 2-line block ×4, first 2 shown]
	v_pk_add_f32 v[0:1], v[216:217], v[0:1]
	s_nop 0
	v_pk_add_f32 v[0:1], v[232:233], v[0:1]
	ds_write_b64 v106, v[0:1] offset:96
.LBB0_17:
	s_or_b64 exec, exec, s[0:1]
	v_add_u32_e32 v84, 0x1000, v214
	s_waitcnt lgkmcnt(0)
	s_barrier
	ds_read2_b64 v[96:99], v84 offset0:73 offset1:164
	v_add_u32_e32 v84, 0x1800, v214
	v_add_u32_e32 v4, 0x400, v214
	;; [unrolled: 1-line block ×3, first 2 shown]
	ds_read2_b64 v[92:95], v84 offset0:12 offset1:103
	v_add_u32_e32 v84, 0x1c00, v214
	v_add_u32_e32 v88, 0x2000, v214
	ds_read2_b64 v[0:3], v214 offset1:91
	ds_read2_b64 v[4:7], v4 offset0:67 offset1:158
	ds_read2_b64 v[80:83], v80 offset0:134 offset1:225
	ds_read2_b64 v[84:87], v84 offset0:79 offset1:170
	ds_read2_b64 v[88:91], v88 offset0:146 offset1:237
	s_and_saveexec_b64 s[0:1], s[4:5]
	s_xor_b64 s[0:1], exec, s[0:1]
	s_andn2_saveexec_b64 s[0:1], s[0:1]
	s_cbranch_execz .LBB0_19
; %bb.18:
	v_add_u32_e32 v104, 0x400, v214
	v_add_u32_e32 v100, 0x1e00, v214
	;; [unrolled: 1-line block ×3, first 2 shown]
	ds_read_b64 v[112:113], v214 offset:10816
	ds_read2_b64 v[100:103], v100 offset0:2 offset1:197
	ds_read2_b64 v[104:107], v104 offset0:54 offset1:249
	;; [unrolled: 1-line block ×3, first 2 shown]
	s_waitcnt lgkmcnt(3)
	v_mov_b32_e32 v218, v112
	s_waitcnt lgkmcnt(2)
	v_mov_b32_e32 v219, v101
	v_mov_b32_e32 v226, v113
	v_mov_b32_e32 v227, v100
	s_waitcnt lgkmcnt(1)
	v_mov_b32_e32 v174, v106
	s_waitcnt lgkmcnt(0)
	v_mov_b32_e32 v175, v111
	v_mov_b32_e32 v176, v107
	;; [unrolled: 1-line block ×3, first 2 shown]
	v_mov_b64_e32 v[188:189], v[104:105]
	v_mov_b64_e32 v[186:187], v[102:103]
	;; [unrolled: 1-line block ×3, first 2 shown]
.LBB0_19:
	s_or_b64 exec, exec, s[0:1]
	s_waitcnt lgkmcnt(6)
	v_pk_mul_f32 v[152:153], v[44:45], v[96:97] op_sel:[0,1] op_sel_hi:[1,0]
	s_waitcnt lgkmcnt(3)
	v_pk_mul_f32 v[138:139], v[36:37], v[4:5] op_sel_hi:[1,0]
	v_mov_b32_e32 v142, v5
	v_mov_b32_e32 v152, v153
	v_pk_mul_f32 v[154:155], v[46:47], v[92:93] op_sel:[0,1] op_sel_hi:[1,0]
	s_waitcnt lgkmcnt(2)
	v_pk_mul_f32 v[144:145], v[38:39], v[80:81] op_sel_hi:[1,0]
	v_mov_b32_e32 v146, v81
	v_pk_mul_f32 v[148:149], v[44:45], v[96:97]
	v_mov_b32_e32 v150, v45
	v_pk_fma_f32 v[44:45], v[44:45], v[96:97], v[152:153] op_sel:[0,1,0] op_sel_hi:[1,0,1] neg_lo:[0,0,1] neg_hi:[0,0,1]
	v_mov_b32_e32 v152, v47
	v_mov_b32_e32 v154, v155
	v_pk_fma_f32 v[142:143], v[36:37], v[142:143], v[138:139] op_sel:[0,0,1] op_sel_hi:[1,1,0] neg_lo:[0,0,1] neg_hi:[0,0,1]
	v_pk_fma_f32 v[4:5], v[36:37], v[4:5], v[138:139] op_sel:[0,1,1] op_sel_hi:[1,1,0]
	v_pk_mul_f32 v[150:151], v[150:151], v[96:97] op_sel:[0,1] op_sel_hi:[1,0]
	v_pk_mul_f32 v[96:97], v[46:47], v[92:93]
	v_pk_mul_f32 v[152:153], v[152:153], v[92:93] op_sel:[0,1] op_sel_hi:[1,0]
	v_pk_fma_f32 v[46:47], v[46:47], v[92:93], v[154:155] op_sel:[0,1,0] op_sel_hi:[1,0,1] neg_lo:[0,0,1] neg_hi:[0,0,1]
	s_waitcnt lgkmcnt(1)
	v_pk_mul_f32 v[92:93], v[40:41], v[84:85] op_sel_hi:[1,0]
	v_mov_b32_e32 v154, v85
	v_mov_b32_e32 v143, v5
	v_pk_fma_f32 v[4:5], v[38:39], v[146:147], v[144:145] op_sel:[0,0,1] op_sel_hi:[1,1,0] neg_lo:[0,0,1] neg_hi:[0,0,1]
	v_pk_fma_f32 v[36:37], v[38:39], v[80:81], v[144:145] op_sel:[0,1,1] op_sel_hi:[1,1,0]
	s_waitcnt lgkmcnt(0)
	v_pk_mul_f32 v[156:157], v[42:43], v[88:89] op_sel_hi:[1,0]
	v_mov_b32_e32 v158, v89
	v_mov_b32_e32 v5, v37
	v_pk_fma_f32 v[36:37], v[40:41], v[154:155], v[92:93] op_sel:[0,0,1] op_sel_hi:[1,1,0] neg_lo:[0,0,1] neg_hi:[0,0,1]
	v_pk_fma_f32 v[38:39], v[40:41], v[84:85], v[92:93] op_sel:[0,1,1] op_sel_hi:[1,1,0]
	v_pk_fma_f32 v[40:41], v[42:43], v[88:89], v[156:157] op_sel:[0,1,1] op_sel_hi:[1,1,0]
	v_mov_b32_e32 v37, v39
	v_pk_fma_f32 v[38:39], v[42:43], v[158:159], v[156:157] op_sel:[0,0,1] op_sel_hi:[1,1,0] neg_lo:[0,0,1] neg_hi:[0,0,1]
	v_mov_b32_e32 v97, v142
	v_mov_b32_e32 v39, v41
	;; [unrolled: 1-line block ×5, first 2 shown]
	v_pk_add_f32 v[40:41], v[142:143], v[38:39]
	v_pk_add_f32 v[42:43], v[142:143], v[38:39] neg_lo:[0,1] neg_hi:[0,1]
	v_pk_add_f32 v[80:81], v[4:5], v[36:37]
	v_pk_add_f32 v[84:85], v[4:5], v[36:37] neg_lo:[0,1] neg_hi:[0,1]
	v_pk_add_f32 v[38:39], v[96:97], v[152:153]
	v_pk_add_f32 v[4:5], v[148:149], v[150:151]
	v_mov_b32_e32 v47, v38
	v_mov_b32_e32 v45, v4
	v_pk_add_f32 v[36:37], v[46:47], v[44:45] neg_lo:[0,1] neg_hi:[0,1]
	v_mov_b32_e32 v138, v81
	v_mov_b32_e32 v139, v44
	;; [unrolled: 1-line block ×4, first 2 shown]
	v_pk_add_f32 v[44:45], v[138:139], v[44:45]
	v_pk_add_f32 v[46:47], v[4:5], v[38:39]
	v_mov_b32_e32 v88, v36
	v_mov_b32_e32 v89, v43
	;; [unrolled: 1-line block ×4, first 2 shown]
	s_mov_b32 s4, 0x3f08b237
	v_mov_b32_e32 v38, v46
	v_mov_b32_e32 v139, v45
	s_mov_b32 s20, 0x3d64c772
	v_pk_add_f32 v[88:89], v[88:89], v[92:93] neg_lo:[0,1] neg_hi:[0,1]
	s_mov_b32 s5, 0xbeae86e6
	v_mov_b32_e32 v92, v42
	v_mov_b32_e32 v96, v36
	;; [unrolled: 1-line block ×3, first 2 shown]
	v_pk_add_f32 v[138:139], v[38:39], v[138:139] neg_lo:[0,1] neg_hi:[0,1]
	v_mov_b32_e32 v142, v41
	v_mov_b32_e32 v143, v45
	;; [unrolled: 1-line block ×3, first 2 shown]
	v_pk_add_f32 v[44:45], v[44:45], v[46:47]
	s_mov_b32 s21, 0x3f4a47b2
	v_pk_mul_f32 v[88:89], v[88:89], s[4:5]
	v_pk_add_f32 v[92:93], v[92:93], v[96:97] neg_lo:[0,1] neg_hi:[0,1]
	s_mov_b32 s14, s5
	s_mov_b32 s15, s4
	v_pk_add_f32 v[36:37], v[36:37], v[84:85]
	v_pk_add_f32 v[142:143], v[142:143], v[4:5] neg_lo:[0,1] neg_hi:[0,1]
	v_pk_add_f32 v[0:1], v[0:1], v[44:45]
	s_mov_b32 s24, 0x3f955555
	v_pk_mul_f32 v[46:47], v[138:139], s[20:21]
	s_mov_b32 s22, s21
	s_mov_b32 s23, s20
	v_pk_mul_f32 v[172:173], v[52:53], v[98:99] op_sel:[0,1] op_sel_hi:[1,0]
	v_pk_mul_f32 v[96:97], v[92:93], s[14:15]
	v_pk_add_f32 v[36:37], v[36:37], v[42:43]
	s_mov_b32 s0, 0xbee1c552
	v_pk_mul_f32 v[138:139], v[142:143], s[22:23]
	v_pk_fma_f32 v[44:45], v[44:45], s[24:25], v[0:1] op_sel_hi:[1,0,1] neg_lo:[1,0,0] neg_hi:[1,0,0]
	v_pk_fma_f32 v[142:143], v[142:143], s[22:23], v[46:47]
	v_pk_fma_f32 v[92:93], v[92:93], s[14:15], v[88:89]
	v_mov_b32_e32 v172, v173
	v_pk_add_f32 v[142:143], v[142:143], v[44:45]
	v_pk_fma_f32 v[92:93], v[36:37], s[0:1], v[92:93] op_sel_hi:[1,0,1]
	v_pk_mul_f32 v[168:169], v[52:53], v[98:99]
	v_mov_b32_e32 v170, v53
	v_pk_fma_f32 v[52:53], v[52:53], v[98:99], v[172:173] op_sel:[0,1,0] op_sel_hi:[1,0,1] neg_lo:[0,0,1] neg_hi:[0,0,1]
	v_pk_add_f32 v[144:145], v[142:143], v[92:93]
	v_pk_add_f32 v[92:93], v[142:143], v[92:93] neg_lo:[0,1] neg_hi:[0,1]
	v_mov_b32_e32 v142, v144
	v_mov_b32_e32 v143, v93
	v_accvgpr_read_b32 v53, a33
	v_mov_b32_e32 v4, v81
	v_mov_b32_e32 v38, v41
	s_barrier
	ds_write2_b64 v53, v[0:1], v[142:143] offset1:13
	v_pk_add_f32 v[0:1], v[84:85], v[42:43] neg_lo:[0,1] neg_hi:[0,1]
	s_mov_b32 s16, 0xbf5ff5aa
	v_pk_add_f32 v[4:5], v[4:5], v[38:39] neg_lo:[0,1] neg_hi:[0,1]
	s_mov_b32 s18, 0x3f3bfb3b
	v_mov_b32_e32 v38, v138
	v_mov_b32_e32 v39, v47
	;; [unrolled: 1-line block ×6, first 2 shown]
	v_pk_fma_f32 v[38:39], v[4:5], s[18:19], v[38:39] op_sel_hi:[1,0,1] neg_lo:[1,0,1] neg_hi:[1,0,1]
	v_pk_fma_f32 v[40:41], v[0:1], s[16:17], v[40:41] op_sel_hi:[1,0,1] neg_lo:[1,0,1] neg_hi:[1,0,1]
	;; [unrolled: 1-line block ×4, first 2 shown]
	v_pk_add_f32 v[38:39], v[38:39], v[44:45]
	v_pk_fma_f32 v[40:41], v[36:37], s[0:1], v[40:41] op_sel_hi:[1,0,1]
	v_pk_add_f32 v[4:5], v[4:5], v[44:45]
	v_pk_fma_f32 v[0:1], v[36:37], s[0:1], v[0:1] op_sel_hi:[1,0,1]
	v_pk_add_f32 v[42:43], v[38:39], v[40:41]
	v_pk_add_f32 v[38:39], v[38:39], v[40:41] neg_lo:[0,1] neg_hi:[0,1]
	v_pk_add_f32 v[36:37], v[4:5], v[0:1] neg_lo:[0,1] neg_hi:[0,1]
	v_pk_add_f32 v[0:1], v[4:5], v[0:1]
	v_pk_mul_f32 v[160:161], v[24:25], v[6:7] op_sel_hi:[1,0]
	v_mov_b32_e32 v162, v7
	v_pk_mul_f32 v[178:179], v[54:55], v[94:95] op_sel:[0,1] op_sel_hi:[1,0]
	v_mov_b32_e32 v40, v42
	v_mov_b32_e32 v41, v39
	;; [unrolled: 1-line block ×6, first 2 shown]
	v_pk_mul_f32 v[164:165], v[26:27], v[82:83] op_sel_hi:[1,0]
	v_mov_b32_e32 v166, v83
	v_mov_b32_e32 v172, v55
	;; [unrolled: 1-line block ×3, first 2 shown]
	ds_write2_b64 v53, v[40:41], v[4:5] offset0:26 offset1:39
	ds_write2_b64 v53, v[0:1], v[38:39] offset0:52 offset1:65
	v_pk_fma_f32 v[0:1], v[24:25], v[162:163], v[160:161] op_sel:[0,0,1] op_sel_hi:[1,1,0] neg_lo:[0,0,1] neg_hi:[0,0,1]
	v_pk_fma_f32 v[4:5], v[24:25], v[6:7], v[160:161] op_sel:[0,1,1] op_sel_hi:[1,1,0]
	v_pk_mul_f32 v[170:171], v[170:171], v[98:99] op_sel:[0,1] op_sel_hi:[1,0]
	v_pk_mul_f32 v[98:99], v[54:55], v[94:95]
	v_pk_mul_f32 v[172:173], v[172:173], v[94:95] op_sel:[0,1] op_sel_hi:[1,0]
	v_pk_fma_f32 v[54:55], v[54:55], v[94:95], v[178:179] op_sel:[0,1,0] op_sel_hi:[1,0,1] neg_lo:[0,0,1] neg_hi:[0,0,1]
	v_pk_mul_f32 v[94:95], v[20:21], v[86:87] op_sel_hi:[1,0]
	v_mov_b32_e32 v178, v87
	v_mov_b32_e32 v1, v5
	v_pk_fma_f32 v[4:5], v[26:27], v[166:167], v[164:165] op_sel:[0,0,1] op_sel_hi:[1,1,0] neg_lo:[0,0,1] neg_hi:[0,0,1]
	v_pk_fma_f32 v[6:7], v[26:27], v[82:83], v[164:165] op_sel:[0,1,1] op_sel_hi:[1,1,0]
	v_pk_mul_f32 v[180:181], v[22:23], v[90:91] op_sel_hi:[1,0]
	v_mov_b32_e32 v182, v91
	v_mov_b32_e32 v5, v7
	v_pk_fma_f32 v[6:7], v[20:21], v[178:179], v[94:95] op_sel:[0,0,1] op_sel_hi:[1,1,0] neg_lo:[0,0,1] neg_hi:[0,0,1]
	v_pk_fma_f32 v[20:21], v[20:21], v[86:87], v[94:95] op_sel:[0,1,1] op_sel_hi:[1,1,0]
	v_mov_b32_e32 v99, v0
	v_mov_b32_e32 v7, v21
	v_pk_fma_f32 v[20:21], v[22:23], v[182:183], v[180:181] op_sel:[0,0,1] op_sel_hi:[1,1,0] neg_lo:[0,0,1] neg_hi:[0,0,1]
	v_pk_fma_f32 v[22:23], v[22:23], v[90:91], v[180:181] op_sel:[0,1,1] op_sel_hi:[1,1,0]
	v_mov_b32_e32 v173, v20
	v_mov_b32_e32 v21, v23
	;; [unrolled: 1-line block ×5, first 2 shown]
	v_pk_add_f32 v[22:23], v[0:1], v[20:21]
	v_pk_add_f32 v[24:25], v[0:1], v[20:21] neg_lo:[0,1] neg_hi:[0,1]
	v_pk_add_f32 v[26:27], v[4:5], v[6:7]
	v_pk_add_f32 v[36:37], v[4:5], v[6:7] neg_lo:[0,1] neg_hi:[0,1]
	v_pk_add_f32 v[0:1], v[98:99], v[172:173]
	v_pk_add_f32 v[4:5], v[168:169], v[170:171]
	ds_write_b64 v53, v[92:93] offset:624
	v_mov_b32_e32 v55, v0
	v_mov_b32_e32 v53, v4
	;; [unrolled: 1-line block ×6, first 2 shown]
	v_pk_add_f32 v[6:7], v[54:55], v[52:53] neg_lo:[0,1] neg_hi:[0,1]
	v_pk_add_f32 v[42:43], v[42:43], v[44:45]
	v_pk_add_f32 v[44:45], v[4:5], v[0:1]
	v_mov_b32_e32 v20, v6
	v_mov_b32_e32 v21, v25
	;; [unrolled: 1-line block ×7, first 2 shown]
	v_pk_add_f32 v[20:21], v[20:21], v[38:39] neg_lo:[0,1] neg_hi:[0,1]
	v_mov_b32_e32 v38, v24
	v_mov_b32_e32 v40, v6
	;; [unrolled: 1-line block ×3, first 2 shown]
	v_pk_add_f32 v[46:47], v[0:1], v[46:47] neg_lo:[0,1] neg_hi:[0,1]
	v_mov_b32_e32 v52, v23
	v_mov_b32_e32 v53, v43
	;; [unrolled: 1-line block ×3, first 2 shown]
	v_pk_add_f32 v[42:43], v[42:43], v[44:45]
	v_pk_mul_f32 v[20:21], v[20:21], s[4:5]
	v_pk_add_f32 v[38:39], v[38:39], v[40:41] neg_lo:[0,1] neg_hi:[0,1]
	v_pk_add_f32 v[6:7], v[6:7], v[36:37]
	v_pk_add_f32 v[52:53], v[52:53], v[4:5] neg_lo:[0,1] neg_hi:[0,1]
	v_pk_add_f32 v[2:3], v[2:3], v[42:43]
	v_pk_mul_f32 v[44:45], v[46:47], s[20:21]
	v_pk_mul_f32 v[40:41], v[38:39], s[14:15]
	v_pk_add_f32 v[6:7], v[6:7], v[24:25]
	v_pk_mul_f32 v[46:47], v[52:53], s[22:23]
	v_pk_fma_f32 v[42:43], v[42:43], s[24:25], v[2:3] op_sel_hi:[1,0,1] neg_lo:[1,0,0] neg_hi:[1,0,0]
	v_pk_fma_f32 v[52:53], v[52:53], s[22:23], v[44:45]
	v_pk_fma_f32 v[38:39], v[38:39], s[14:15], v[20:21]
	v_pk_add_f32 v[52:53], v[52:53], v[42:43]
	v_pk_fma_f32 v[38:39], v[6:7], s[0:1], v[38:39] op_sel_hi:[1,0,1]
	v_accvgpr_read_b32 v26, a34
	v_pk_add_f32 v[54:55], v[52:53], v[38:39]
	v_pk_add_f32 v[38:39], v[52:53], v[38:39] neg_lo:[0,1] neg_hi:[0,1]
	v_mov_b32_e32 v52, v54
	v_mov_b32_e32 v53, v39
	;; [unrolled: 1-line block ×4, first 2 shown]
	ds_write2_b64 v26, v[2:3], v[52:53] offset1:13
	v_pk_add_f32 v[2:3], v[36:37], v[24:25] neg_lo:[0,1] neg_hi:[0,1]
	v_pk_add_f32 v[0:1], v[4:5], v[0:1] neg_lo:[0,1] neg_hi:[0,1]
	v_mov_b32_e32 v4, v46
	v_mov_b32_e32 v5, v45
	;; [unrolled: 1-line block ×6, first 2 shown]
	v_pk_fma_f32 v[4:5], v[0:1], s[18:19], v[4:5] op_sel_hi:[1,0,1] neg_lo:[1,0,1] neg_hi:[1,0,1]
	v_pk_fma_f32 v[22:23], v[2:3], s[16:17], v[22:23] op_sel_hi:[1,0,1] neg_lo:[1,0,1] neg_hi:[1,0,1]
	v_pk_fma_f32 v[0:1], v[0:1], s[18:19], v[44:45] op_sel_hi:[1,0,1] neg_lo:[0,0,1] neg_hi:[0,0,1]
	v_pk_fma_f32 v[2:3], v[2:3], s[16:17], v[20:21] op_sel_hi:[1,0,1] neg_lo:[0,0,1] neg_hi:[0,0,1]
	v_pk_add_f32 v[4:5], v[4:5], v[42:43]
	v_pk_fma_f32 v[22:23], v[6:7], s[0:1], v[22:23] op_sel_hi:[1,0,1]
	v_pk_add_f32 v[0:1], v[0:1], v[42:43]
	v_pk_fma_f32 v[2:3], v[6:7], s[0:1], v[2:3] op_sel_hi:[1,0,1]
	v_pk_add_f32 v[24:25], v[4:5], v[22:23]
	v_pk_add_f32 v[4:5], v[4:5], v[22:23] neg_lo:[0,1] neg_hi:[0,1]
	v_pk_add_f32 v[6:7], v[0:1], v[2:3] neg_lo:[0,1] neg_hi:[0,1]
	v_pk_add_f32 v[0:1], v[0:1], v[2:3]
	v_mov_b32_e32 v128, v32
	v_mov_b32_e32 v129, v32
	;; [unrolled: 1-line block ×36, first 2 shown]
	v_add_u32_e32 v121, 0x5b0, v214
	v_mov_b32_e32 v106, v64
	v_mov_b32_e32 v107, v64
	;; [unrolled: 1-line block ×6, first 2 shown]
	v_add_u32_e32 v120, 0x888, v214
	v_mov_b32_e32 v102, v60
	v_mov_b32_e32 v103, v60
	;; [unrolled: 1-line block ×12, first 2 shown]
	v_add_u32_e32 v132, 0xb60, v214
	v_mov_b32_e32 v22, v24
	v_mov_b32_e32 v23, v5
	;; [unrolled: 1-line block ×7, first 2 shown]
	ds_write2_b64 v26, v[22:23], v[2:3] offset0:26 offset1:39
	ds_write2_b64 v26, v[0:1], v[4:5] offset0:52 offset1:65
	ds_write_b64 v26, v[38:39] offset:624
	s_and_saveexec_b64 s[24:25], s[2:3]
	s_cbranch_execz .LBB0_21
; %bb.20:
	v_mov_b32_e32 v0, v11
	v_mov_b32_e32 v1, v16
	;; [unrolled: 1-line block ×10, first 2 shown]
	v_pk_mul_f32 v[14:15], v[14:15], v[184:185]
	v_pk_mul_f32 v[16:17], v[16:17], v[186:187]
	v_mov_b32_e32 v4, v13
	v_mov_b32_e32 v5, v9
	;; [unrolled: 1-line block ×5, first 2 shown]
	v_pk_mul_f32 v[42:43], v[42:43], v[44:45]
	v_mov_b32_e32 v44, v16
	v_mov_b32_e32 v45, v14
	;; [unrolled: 1-line block ×3, first 2 shown]
	v_pk_mul_f32 v[16:17], v[20:21], v[218:219]
	v_mov_b32_e32 v2, v12
	v_mov_b32_e32 v3, v8
	v_pk_mul_f32 v[4:5], v[4:5], v[176:177]
	v_mov_b32_e32 v6, v18
	v_mov_b32_e32 v7, v10
	v_pk_mul_f32 v[22:23], v[22:23], v[226:227]
	v_pk_mul_f32 v[10:11], v[10:11], v[24:25]
	v_mov_b32_e32 v24, v219
	v_mov_b32_e32 v26, v219
	;; [unrolled: 1-line block ×7, first 2 shown]
	v_pk_fma_f32 v[16:17], v[18:19], v[226:227], v[16:17] neg_lo:[0,0,1] neg_hi:[0,0,1]
	v_mov_b32_e32 v18, v13
	v_pk_add_f32 v[14:15], v[44:45], v[14:15]
	v_pk_mul_f32 v[18:19], v[18:19], v[174:175]
	v_pk_fma_f32 v[44:45], v[2:3], v[174:175], v[4:5]
	v_pk_fma_f32 v[2:3], v[2:3], v[174:175], v[4:5] neg_lo:[0,0,1] neg_hi:[0,0,1]
	v_pk_fma_f32 v[4:5], v[6:7], v[218:219], v[22:23]
	v_pk_fma_f32 v[6:7], v[6:7], v[218:219], v[22:23] neg_lo:[0,0,1] neg_hi:[0,0,1]
	;; [unrolled: 2-line block ×4, first 2 shown]
	v_pk_fma_f32 v[12:13], v[12:13], v[176:177], v[18:19] neg_lo:[0,0,1] neg_hi:[0,0,1]
	v_mov_b32_e32 v20, v15
	v_mov_b32_e32 v45, v3
	;; [unrolled: 1-line block ×5, first 2 shown]
	v_pk_add_f32 v[18:19], v[16:17], v[12:13]
	v_pk_add_f32 v[20:21], v[14:15], v[20:21]
	;; [unrolled: 1-line block ×4, first 2 shown]
	v_mov_b32_e32 v6, v7
	v_mov_b32_e32 v7, v22
	;; [unrolled: 1-line block ×9, first 2 shown]
	v_pk_add_f32 v[2:3], v[6:7], v[2:3] neg_lo:[0,1] neg_hi:[0,1]
	v_mov_b32_e32 v6, v11
	v_mov_b32_e32 v7, v15
	;; [unrolled: 1-line block ×4, first 2 shown]
	v_pk_add_f32 v[40:41], v[40:41], v[20:21] neg_lo:[0,1] neg_hi:[0,1]
	v_mov_b32_e32 v21, v27
	v_mov_b32_e32 v42, v24
	;; [unrolled: 1-line block ×3, first 2 shown]
	v_pk_add_f32 v[4:5], v[12:13], v[16:17] neg_lo:[0,1] neg_hi:[0,1]
	v_pk_add_f32 v[0:1], v[6:7], v[0:1] neg_lo:[0,1] neg_hi:[0,1]
	;; [unrolled: 1-line block ×3, first 2 shown]
	v_pk_add_f32 v[18:19], v[20:21], v[42:43]
	v_mov_b32_e32 v27, v25
	v_mov_b32_e32 v10, v2
	;; [unrolled: 1-line block ×5, first 2 shown]
	v_pk_add_f32 v[18:19], v[26:27], v[18:19]
	v_mov_b32_e32 v6, v4
	v_mov_b32_e32 v7, v3
	;; [unrolled: 1-line block ×4, first 2 shown]
	v_pk_add_f32 v[10:11], v[10:11], v[12:13] neg_lo:[0,1] neg_hi:[0,1]
	v_pk_mul_f32 v[40:41], v[40:41], s[20:21]
	v_pk_add_f32 v[24:25], v[188:189], v[18:19]
	s_mov_b32 s2, 0xbf955555
	v_pk_add_f32 v[6:7], v[6:7], v[8:9] neg_lo:[0,1] neg_hi:[0,1]
	v_pk_mul_f32 v[10:11], v[10:11], s[4:5]
	v_pk_add_f32 v[2:3], v[2:3], v[0:1]
	v_pk_mul_f32 v[38:39], v[36:37], s[22:23]
	v_pk_fma_f32 v[36:37], v[36:37], s[22:23], v[40:41]
	v_pk_fma_f32 v[18:19], v[18:19], s[2:3], v[24:25] op_sel_hi:[1,0,1]
	v_pk_mul_f32 v[8:9], v[6:7], s[14:15]
	v_pk_fma_f32 v[6:7], v[6:7], s[14:15], v[10:11]
	v_pk_add_f32 v[2:3], v[2:3], v[4:5]
	v_pk_add_f32 v[26:27], v[36:37], v[18:19]
	v_pk_fma_f32 v[6:7], v[2:3], s[0:1], v[6:7] op_sel_hi:[1,0,1]
	v_accvgpr_read_b32 v22, a32
	v_pk_add_f32 v[12:13], v[26:27], v[6:7] neg_lo:[0,1] neg_hi:[0,1]
	v_pk_add_f32 v[6:7], v[26:27], v[6:7]
	v_mov_b32_e32 v15, v13
	v_mov_b32_e32 v14, v6
	v_add_u32_e32 v6, 0x2400, v22
	v_pk_add_f32 v[0:1], v[0:1], v[4:5] neg_lo:[0,1] neg_hi:[0,1]
	v_mov_b32_e32 v4, v8
	v_mov_b32_e32 v5, v11
	;; [unrolled: 1-line block ×3, first 2 shown]
	ds_write2_b64 v6, v[24:25], v[14:15] offset0:122 offset1:135
	v_mov_b32_e32 v14, v38
	v_mov_b32_e32 v15, v41
	v_pk_add_f32 v[16:17], v[20:21], v[42:43] neg_lo:[0,1] neg_hi:[0,1]
	v_pk_fma_f32 v[4:5], v[0:1], s[16:17], v[4:5] op_sel_hi:[1,0,1] neg_lo:[1,0,1] neg_hi:[1,0,1]
	v_pk_fma_f32 v[0:1], v[0:1], s[16:17], v[10:11] op_sel_hi:[1,0,1] neg_lo:[0,0,1] neg_hi:[0,0,1]
	v_mov_b32_e32 v41, v39
	v_pk_fma_f32 v[14:15], v[16:17], s[18:19], v[14:15] op_sel_hi:[1,0,1] neg_lo:[1,0,1] neg_hi:[1,0,1]
	v_pk_fma_f32 v[4:5], v[2:3], s[0:1], v[4:5] op_sel_hi:[1,0,1]
	v_pk_fma_f32 v[0:1], v[2:3], s[0:1], v[0:1] op_sel_hi:[1,0,1]
	v_pk_fma_f32 v[2:3], v[16:17], s[18:19], v[40:41] op_sel_hi:[1,0,1] neg_lo:[0,0,1] neg_hi:[0,0,1]
	v_pk_add_f32 v[14:15], v[14:15], v[18:19]
	v_pk_add_f32 v[2:3], v[2:3], v[18:19]
	v_pk_add_f32 v[20:21], v[14:15], v[4:5] neg_lo:[0,1] neg_hi:[0,1]
	v_pk_add_f32 v[4:5], v[14:15], v[4:5]
	v_pk_add_f32 v[8:9], v[2:3], v[0:1]
	v_pk_add_f32 v[0:1], v[2:3], v[0:1] neg_lo:[0,1] neg_hi:[0,1]
	v_mov_b32_e32 v14, v4
	v_mov_b32_e32 v15, v21
	;; [unrolled: 1-line block ×4, first 2 shown]
	v_add_u32_e32 v0, 0x2800, v22
	v_mov_b32_e32 v9, v1
	v_mov_b32_e32 v21, v5
	;; [unrolled: 1-line block ×3, first 2 shown]
	ds_write2_b64 v0, v[14:15], v[2:3] offset0:20 offset1:33
	ds_write2_b64 v0, v[8:9], v[20:21] offset0:46 offset1:59
	ds_write_b64 v22, v[12:13] offset:10816
.LBB0_21:
	s_or_b64 exec, exec, s[24:25]
	v_add_u32_e32 v5, 0x400, v214
	s_waitcnt lgkmcnt(0)
	s_barrier
	ds_read2_b64 v[10:13], v5 offset0:54 offset1:145
	v_add_u32_e32 v3, 0x1000, v214
	ds_read2_b64 v[14:17], v3 offset0:34 offset1:125
	v_add_u32_e32 v82, 0x1400, v214
	;; [unrolled: 2-line block ×3, first 2 shown]
	s_waitcnt lgkmcnt(2)
	v_pk_mul_f32 v[26:27], v[32:33], v[12:13]
	ds_read2_b64 v[22:25], v2 offset0:68 offset1:159
	v_pk_fma_f32 v[36:37], v[128:129], v[12:13], v[26:27] op_sel:[0,0,1] op_sel_hi:[1,1,0]
	v_pk_fma_f32 v[12:13], v[128:129], v[12:13], v[26:27] op_sel:[0,0,1] op_sel_hi:[1,1,0] neg_lo:[0,0,1] neg_hi:[0,0,1]
	ds_read2_b64 v[6:9], v214 offset1:91
	v_mov_b32_e32 v37, v13
	s_waitcnt lgkmcnt(3)
	v_pk_mul_f32 v[12:13], v[34:35], v[14:15]
	s_mov_b32 s0, 0x3f737871
	v_pk_fma_f32 v[26:27], v[126:127], v[14:15], v[12:13] op_sel:[0,0,1] op_sel_hi:[1,1,0]
	v_pk_fma_f32 v[12:13], v[126:127], v[14:15], v[12:13] op_sel:[0,0,1] op_sel_hi:[1,1,0] neg_lo:[0,0,1] neg_hi:[0,0,1]
	s_mov_b32 s2, 0x3f167918
	v_mov_b32_e32 v27, v13
	s_waitcnt lgkmcnt(2)
	v_pk_mul_f32 v[12:13], v[28:29], v[20:21]
	v_pk_add_f32 v[46:47], v[36:37], v[26:27] neg_lo:[0,1] neg_hi:[0,1]
	v_pk_fma_f32 v[14:15], v[124:125], v[20:21], v[12:13] op_sel:[0,0,1] op_sel_hi:[1,1,0]
	v_pk_fma_f32 v[12:13], v[124:125], v[20:21], v[12:13] op_sel:[0,0,1] op_sel_hi:[1,1,0] neg_lo:[0,0,1] neg_hi:[0,0,1]
	s_mov_b32 s4, 0x3e9e377a
	v_mov_b32_e32 v15, v13
	s_waitcnt lgkmcnt(1)
	v_pk_mul_f32 v[12:13], v[30:31], v[22:23]
	v_pk_add_f32 v[42:43], v[26:27], v[14:15] neg_lo:[0,1] neg_hi:[0,1]
	v_pk_fma_f32 v[20:21], v[122:123], v[22:23], v[12:13] op_sel:[0,0,1] op_sel_hi:[1,1,0]
	v_pk_fma_f32 v[12:13], v[122:123], v[22:23], v[12:13] op_sel:[0,0,1] op_sel_hi:[1,1,0] neg_lo:[0,0,1] neg_hi:[0,0,1]
	v_pk_mul_f32 v[44:45], v[42:43], s[2:3] op_sel_hi:[1,0]
	v_mov_b32_e32 v21, v13
	s_waitcnt lgkmcnt(0)
	v_pk_add_f32 v[12:13], v[6:7], v[36:37]
	v_pk_add_f32 v[22:23], v[36:37], v[20:21] neg_lo:[0,1] neg_hi:[0,1]
	v_pk_add_f32 v[12:13], v[12:13], v[26:27]
	v_pk_mul_f32 v[40:41], v[22:23], s[0:1] op_sel_hi:[1,0]
	v_pk_add_f32 v[12:13], v[12:13], v[14:15]
	v_pk_add_f32 v[52:53], v[20:21], v[14:15] neg_lo:[0,1] neg_hi:[0,1]
	v_pk_add_f32 v[38:39], v[12:13], v[20:21]
	v_pk_add_f32 v[12:13], v[26:27], v[14:15]
	;; [unrolled: 1-line block ×3, first 2 shown]
	v_pk_fma_f32 v[12:13], v[12:13], 0.5, v[6:7] op_sel_hi:[1,0,1] neg_lo:[1,0,0] neg_hi:[1,0,0]
	v_pk_add_f32 v[26:27], v[26:27], v[36:37] neg_lo:[0,1] neg_hi:[0,1]
	v_pk_add_f32 v[52:53], v[12:13], v[40:41] op_sel:[0,1] op_sel_hi:[1,0] neg_lo:[0,1] neg_hi:[0,1]
	v_pk_add_f32 v[12:13], v[12:13], v[40:41] op_sel:[0,1] op_sel_hi:[1,0]
	v_pk_add_f32 v[14:15], v[14:15], v[20:21] neg_lo:[0,1] neg_hi:[0,1]
	v_pk_add_f32 v[40:41], v[12:13], v[44:45] op_sel:[0,1] op_sel_hi:[1,0]
	v_pk_add_f32 v[12:13], v[52:53], v[44:45] op_sel:[0,1] op_sel_hi:[1,0] neg_lo:[0,1] neg_hi:[0,1]
	v_pk_add_f32 v[52:53], v[36:37], v[20:21]
	v_pk_mul_f32 v[20:21], v[42:43], s[0:1] op_sel_hi:[1,0]
	v_pk_fma_f32 v[6:7], v[52:53], 0.5, v[6:7] op_sel_hi:[1,0,1] neg_lo:[1,0,0] neg_hi:[1,0,0]
	v_pk_add_f32 v[14:15], v[26:27], v[14:15]
	v_pk_mul_f32 v[22:23], v[22:23], s[2:3] op_sel_hi:[1,0]
	v_pk_add_f32 v[26:27], v[6:7], v[20:21] op_sel:[0,1] op_sel_hi:[1,0]
	v_pk_add_f32 v[6:7], v[6:7], v[20:21] op_sel:[0,1] op_sel_hi:[1,0] neg_lo:[0,1] neg_hi:[0,1]
	v_pk_add_f32 v[20:21], v[26:27], v[22:23] op_sel:[0,1] op_sel_hi:[1,0] neg_lo:[0,1] neg_hi:[0,1]
	v_pk_add_f32 v[6:7], v[6:7], v[22:23] op_sel:[0,1] op_sel_hi:[1,0]
	v_mov_b32_e32 v22, v20
	v_mov_b32_e32 v23, v7
	;; [unrolled: 1-line block ×3, first 2 shown]
	v_pk_fma_f32 v[36:37], v[14:15], s[4:5], v[6:7] op_sel_hi:[1,0,1]
	v_add_u32_e32 v6, 0x800, v214
	v_mov_b32_e32 v44, v12
	v_mov_b32_e32 v45, v41
	v_pk_fma_f32 v[26:27], v[14:15], s[4:5], v[22:23] op_sel_hi:[1,0,1]
	v_mov_b32_e32 v41, v13
	ds_read2_b64 v[12:15], v6 offset0:108 offset1:199
	v_pk_fma_f32 v[44:45], v[46:47], s[4:5], v[44:45] op_sel_hi:[1,0,1]
	v_pk_fma_f32 v[40:41], v[46:47], s[4:5], v[40:41] op_sel_hi:[1,0,1]
	v_add_u32_e32 v4, 0x1800, v214
	ds_read2_b64 v[20:23], v4 offset0:142 offset1:233
	ds_read_b64 v[42:43], v214 offset:10192
	s_waitcnt lgkmcnt(2)
	v_pk_mul_f32 v[46:47], v[56:57], v[14:15]
	v_pk_mul_f32 v[32:33], v[32:33], v[12:13]
	v_pk_fma_f32 v[52:53], v[140:141], v[14:15], v[46:47] op_sel:[0,0,1] op_sel_hi:[1,1,0]
	v_pk_fma_f32 v[14:15], v[140:141], v[14:15], v[46:47] op_sel:[0,0,1] op_sel_hi:[1,1,0] neg_lo:[0,0,1] neg_hi:[0,0,1]
	s_waitcnt lgkmcnt(0)
	v_mov_b32_e32 v53, v15
	v_pk_mul_f32 v[14:15], v[58:59], v[18:19]
	v_pk_fma_f32 v[58:59], v[128:129], v[12:13], v[32:33] op_sel:[0,0,1] op_sel_hi:[1,1,0]
	v_pk_fma_f32 v[12:13], v[128:129], v[12:13], v[32:33] op_sel:[0,0,1] op_sel_hi:[1,1,0] neg_lo:[0,0,1] neg_hi:[0,0,1]
	s_barrier
	v_mov_b32_e32 v59, v13
	v_pk_mul_f32 v[12:13], v[34:35], v[16:17]
	s_nop 0
	v_pk_fma_f32 v[32:33], v[126:127], v[16:17], v[12:13] op_sel:[0,0,1] op_sel_hi:[1,1,0]
	v_pk_fma_f32 v[12:13], v[126:127], v[16:17], v[12:13] op_sel:[0,0,1] op_sel_hi:[1,1,0] neg_lo:[0,0,1] neg_hi:[0,0,1]
	ds_write2_b64 v214, v[38:39], v[44:45] offset1:91
	ds_write2_b64 v5, v[26:27], v[36:37] offset0:54 offset1:145
	v_mov_b32_e32 v33, v13
	v_pk_mul_f32 v[12:13], v[28:29], v[20:21]
	v_pk_add_f32 v[26:27], v[8:9], v[58:59]
	v_pk_fma_f32 v[16:17], v[124:125], v[20:21], v[12:13] op_sel:[0,0,1] op_sel_hi:[1,1,0]
	v_pk_fma_f32 v[12:13], v[124:125], v[20:21], v[12:13] op_sel:[0,0,1] op_sel_hi:[1,1,0] neg_lo:[0,0,1] neg_hi:[0,0,1]
	v_pk_add_f32 v[26:27], v[26:27], v[32:33]
	v_mov_b32_e32 v17, v13
	v_pk_mul_f32 v[12:13], v[30:31], v[24:25]
	v_pk_add_f32 v[26:27], v[26:27], v[16:17]
	v_pk_fma_f32 v[20:21], v[122:123], v[24:25], v[12:13] op_sel:[0,0,1] op_sel_hi:[1,1,0]
	v_pk_fma_f32 v[12:13], v[122:123], v[24:25], v[12:13] op_sel:[0,0,1] op_sel_hi:[1,1,0] neg_lo:[0,0,1] neg_hi:[0,0,1]
	v_pk_fma_f32 v[46:47], v[136:137], v[18:19], v[14:15] op_sel:[0,0,1] op_sel_hi:[1,1,0]
	v_mov_b32_e32 v21, v13
	v_pk_fma_f32 v[14:15], v[136:137], v[18:19], v[14:15] op_sel:[0,0,1] op_sel_hi:[1,1,0] neg_lo:[0,0,1] neg_hi:[0,0,1]
	v_pk_add_f32 v[26:27], v[26:27], v[20:21]
	v_mov_b32_e32 v47, v15
	v_pk_mul_f32 v[14:15], v[48:49], v[22:23]
	v_pk_add_f32 v[12:13], v[32:33], v[16:17]
	ds_write2_b64 v6, v[40:41], v[26:27] offset0:108 offset1:199
	v_pk_add_f32 v[26:27], v[58:59], v[20:21]
	v_pk_fma_f32 v[18:19], v[134:135], v[22:23], v[14:15] op_sel:[0,0,1] op_sel_hi:[1,1,0]
	v_pk_fma_f32 v[14:15], v[134:135], v[22:23], v[14:15] op_sel:[0,0,1] op_sel_hi:[1,1,0] neg_lo:[0,0,1] neg_hi:[0,0,1]
	v_pk_fma_f32 v[12:13], v[12:13], 0.5, v[8:9] op_sel_hi:[1,0,1] neg_lo:[1,0,0] neg_hi:[1,0,0]
	v_pk_add_f32 v[24:25], v[58:59], v[20:21] neg_lo:[0,1] neg_hi:[0,1]
	v_pk_add_f32 v[28:29], v[32:33], v[16:17] neg_lo:[0,1] neg_hi:[0,1]
	;; [unrolled: 1-line block ×4, first 2 shown]
	v_pk_fma_f32 v[8:9], v[26:27], 0.5, v[8:9] op_sel_hi:[1,0,1] neg_lo:[1,0,0] neg_hi:[1,0,0]
	v_mov_b32_e32 v19, v15
	v_pk_mul_f32 v[14:15], v[50:51], v[42:43]
	v_pk_add_f32 v[30:31], v[30:31], v[34:35]
	v_pk_fma_f32 v[34:35], v[24:25], s[0:1], v[12:13] op_sel:[1,0,0] op_sel_hi:[0,0,1]
	v_pk_fma_f32 v[12:13], v[24:25], s[0:1], v[12:13] op_sel:[1,0,0] op_sel_hi:[0,0,1] neg_lo:[1,0,0] neg_hi:[1,0,0]
	v_pk_add_f32 v[16:17], v[16:17], v[20:21] neg_lo:[0,1] neg_hi:[0,1]
	v_pk_fma_f32 v[20:21], v[28:29], s[0:1], v[8:9] op_sel:[1,0,0] op_sel_hi:[0,0,1] neg_lo:[1,0,0] neg_hi:[1,0,0]
	v_pk_fma_f32 v[8:9], v[28:29], s[0:1], v[8:9] op_sel:[1,0,0] op_sel_hi:[0,0,1]
	v_pk_fma_f32 v[22:23], v[130:131], v[42:43], v[14:15] op_sel:[0,0,1] op_sel_hi:[1,1,0]
	v_pk_fma_f32 v[14:15], v[130:131], v[42:43], v[14:15] op_sel:[0,0,1] op_sel_hi:[1,1,0] neg_lo:[0,0,1] neg_hi:[0,0,1]
	v_pk_fma_f32 v[12:13], v[28:29], s[2:3], v[12:13] op_sel:[1,0,0] op_sel_hi:[0,0,1] neg_lo:[1,0,0] neg_hi:[1,0,0]
	v_pk_fma_f32 v[34:35], v[28:29], s[2:3], v[34:35] op_sel:[1,0,0] op_sel_hi:[0,0,1]
	v_pk_add_f32 v[26:27], v[32:33], v[58:59] neg_lo:[0,1] neg_hi:[0,1]
	v_pk_fma_f32 v[8:9], v[24:25], s[2:3], v[8:9] op_sel:[1,0,0] op_sel_hi:[0,0,1] neg_lo:[1,0,0] neg_hi:[1,0,0]
	v_pk_fma_f32 v[20:21], v[24:25], s[2:3], v[20:21] op_sel:[1,0,0] op_sel_hi:[0,0,1]
	v_mov_b32_e32 v23, v15
	v_pk_add_f32 v[14:15], v[46:47], v[18:19]
	v_mov_b32_e32 v81, v13
	v_mov_b32_e32 v13, v35
	v_pk_add_f32 v[16:17], v[26:27], v[16:17]
	v_mov_b32_e32 v25, v9
	v_mov_b32_e32 v9, v21
	v_pk_fma_f32 v[14:15], v[14:15], 0.5, v[10:11] op_sel_hi:[1,0,1] neg_lo:[1,0,0] neg_hi:[1,0,0]
	v_pk_add_f32 v[42:43], v[52:53], v[22:23] neg_lo:[0,1] neg_hi:[0,1]
	v_pk_add_f32 v[50:51], v[52:53], v[46:47] neg_lo:[0,1] neg_hi:[0,1]
	;; [unrolled: 1-line block ×3, first 2 shown]
	v_mov_b32_e32 v80, v34
	v_pk_fma_f32 v[12:13], v[30:31], s[4:5], v[12:13] op_sel_hi:[1,0,1]
	v_mov_b32_e32 v24, v20
	v_pk_fma_f32 v[8:9], v[16:17], s[4:5], v[8:9] op_sel_hi:[1,0,1]
	v_pk_add_f32 v[48:49], v[46:47], v[18:19] neg_lo:[0,1] neg_hi:[0,1]
	v_pk_add_f32 v[50:51], v[50:51], v[54:55]
	v_pk_fma_f32 v[54:55], v[42:43], s[0:1], v[14:15] op_sel:[1,0,0] op_sel_hi:[0,0,1]
	v_pk_fma_f32 v[14:15], v[42:43], s[0:1], v[14:15] op_sel:[1,0,0] op_sel_hi:[0,0,1] neg_lo:[1,0,0] neg_hi:[1,0,0]
	v_pk_fma_f32 v[80:81], v[30:31], s[4:5], v[80:81] op_sel_hi:[1,0,1]
	v_pk_fma_f32 v[24:25], v[16:17], s[4:5], v[24:25] op_sel_hi:[1,0,1]
	ds_write2_b64 v3, v[12:13], v[8:9] offset0:34 offset1:125
	ds_write2_b64 v82, v[24:25], v[80:81] offset0:88 offset1:179
	v_pk_add_f32 v[8:9], v[10:11], v[52:53]
	v_pk_fma_f32 v[14:15], v[48:49], s[2:3], v[14:15] op_sel:[1,0,0] op_sel_hi:[0,0,1] neg_lo:[1,0,0] neg_hi:[1,0,0]
	v_pk_fma_f32 v[54:55], v[48:49], s[2:3], v[54:55] op_sel:[1,0,0] op_sel_hi:[0,0,1]
	v_pk_add_f32 v[8:9], v[8:9], v[46:47]
	v_mov_b32_e32 v57, v15
	v_pk_add_f32 v[8:9], v[8:9], v[18:19]
	v_mov_b32_e32 v15, v55
	v_accvgpr_read_b32 v16, a19
	v_pk_add_f32 v[8:9], v[8:9], v[22:23]
	v_pk_fma_f32 v[12:13], v[50:51], s[4:5], v[14:15] op_sel_hi:[1,0,1]
	v_add_u32_e32 v7, 0x1800, v16
	ds_write2_b64 v7, v[8:9], v[12:13] offset0:142 offset1:233
	v_pk_add_f32 v[8:9], v[52:53], v[22:23]
	v_pk_add_f32 v[12:13], v[18:19], v[22:23] neg_lo:[0,1] neg_hi:[0,1]
	v_pk_fma_f32 v[8:9], v[8:9], 0.5, v[10:11] op_sel_hi:[1,0,1] neg_lo:[1,0,0] neg_hi:[1,0,0]
	v_pk_add_f32 v[10:11], v[46:47], v[52:53] neg_lo:[0,1] neg_hi:[0,1]
	v_mov_b32_e32 v56, v54
	v_pk_add_f32 v[10:11], v[10:11], v[12:13]
	v_pk_fma_f32 v[12:13], v[48:49], s[0:1], v[8:9] op_sel:[1,0,0] op_sel_hi:[0,0,1] neg_lo:[1,0,0] neg_hi:[1,0,0]
	v_pk_fma_f32 v[8:9], v[48:49], s[0:1], v[8:9] op_sel:[1,0,0] op_sel_hi:[0,0,1]
	v_pk_fma_f32 v[8:9], v[42:43], s[2:3], v[8:9] op_sel:[1,0,0] op_sel_hi:[0,0,1] neg_lo:[1,0,0] neg_hi:[1,0,0]
	v_pk_fma_f32 v[12:13], v[42:43], s[2:3], v[12:13] op_sel:[1,0,0] op_sel_hi:[0,0,1]
	v_mov_b32_e32 v14, v12
	v_mov_b32_e32 v15, v9
	;; [unrolled: 1-line block ×3, first 2 shown]
	v_pk_fma_f32 v[14:15], v[10:11], s[4:5], v[14:15] op_sel_hi:[1,0,1]
	v_pk_fma_f32 v[8:9], v[10:11], s[4:5], v[8:9] op_sel_hi:[1,0,1]
	v_add_u32_e32 v7, 0x2000, v16
	v_pk_fma_f32 v[56:57], v[50:51], s[4:5], v[56:57] op_sel_hi:[1,0,1]
	ds_write2_b64 v7, v[8:9], v[14:15] offset0:68 offset1:159
	ds_write_b64 v16, v[56:57] offset:10192
	s_waitcnt lgkmcnt(0)
	s_barrier
	ds_read2_b64 v[8:11], v6 offset0:108 offset1:199
	ds_read2_b64 v[12:15], v214 offset1:91
	ds_read2_b64 v[16:19], v4 offset0:142 offset1:233
	v_accvgpr_read_b32 v52, a18
	v_mad_u64_u32 v[28:29], s[0:1], s10, v52, 0
	s_waitcnt lgkmcnt(2)
	v_pk_mul_f32 v[20:21], v[76:77], v[10:11]
	s_mov_b32 s0, 0x3f5db3d7
	v_pk_fma_f32 v[32:33], v[118:119], v[10:11], v[20:21] op_sel:[0,0,1] op_sel_hi:[1,1,0]
	v_pk_fma_f32 v[10:11], v[118:119], v[10:11], v[20:21] op_sel:[0,0,1] op_sel_hi:[1,1,0] neg_lo:[0,0,1] neg_hi:[0,0,1]
	ds_read2_b64 v[20:23], v3 offset0:34 offset1:125
	v_mov_b32_e32 v33, v11
	s_waitcnt lgkmcnt(1)
	v_pk_mul_f32 v[10:11], v[78:79], v[16:17]
	v_add_u32_e32 v7, 0xc00, v215
	v_pk_fma_f32 v[34:35], v[116:117], v[16:17], v[10:11] op_sel:[0,0,1] op_sel_hi:[1,1,0]
	v_pk_fma_f32 v[10:11], v[116:117], v[16:17], v[10:11] op_sel:[0,0,1] op_sel_hi:[1,1,0] neg_lo:[0,0,1] neg_hi:[0,0,1]
	s_waitcnt lgkmcnt(0)
	v_pk_mul_f32 v[16:17], v[72:73], v[20:21]
	v_mov_b32_e32 v35, v11
	v_pk_fma_f32 v[36:37], v[114:115], v[20:21], v[16:17] op_sel:[0,0,1] op_sel_hi:[1,1,0]
	v_pk_fma_f32 v[16:17], v[114:115], v[20:21], v[16:17] op_sel:[0,0,1] op_sel_hi:[1,1,0] neg_lo:[0,0,1] neg_hi:[0,0,1]
	v_pk_mul_f32 v[20:21], v[68:69], v[22:23]
	v_mov_b32_e32 v37, v17
	v_pk_mul_f32 v[16:17], v[74:75], v[18:19]
	v_pk_fma_f32 v[42:43], v[110:111], v[22:23], v[20:21] op_sel:[0,0,1] op_sel_hi:[1,1,0]
	v_pk_fma_f32 v[38:39], v[112:113], v[18:19], v[16:17] op_sel:[0,0,1] op_sel_hi:[1,1,0]
	v_pk_fma_f32 v[16:17], v[112:113], v[18:19], v[16:17] op_sel:[0,0,1] op_sel_hi:[1,1,0] neg_lo:[0,0,1] neg_hi:[0,0,1]
	v_pk_fma_f32 v[20:21], v[110:111], v[22:23], v[20:21] op_sel:[0,0,1] op_sel_hi:[1,1,0] neg_lo:[0,0,1] neg_hi:[0,0,1]
	v_mov_b32_e32 v39, v17
	v_pk_add_f32 v[16:17], v[14:15], v[36:37]
	v_mov_b32_e32 v43, v21
	v_pk_add_f32 v[40:41], v[16:17], v[38:39]
	ds_read2_b64 v[16:19], v5 offset0:54 offset1:145
	ds_read2_b64 v[24:27], v2 offset0:68 offset1:159
	v_pk_add_f32 v[10:11], v[12:13], v[32:33]
	v_mov_b32_e32 v30, v29
	v_pk_add_f32 v[10:11], v[10:11], v[34:35]
	ds_write_b64 v214, v[10:11]
	s_waitcnt lgkmcnt(1)
	v_pk_mul_f32 v[20:21], v[70:71], v[24:25]
	v_mov_b32_e32 v0, s12
	v_pk_fma_f32 v[44:45], v[108:109], v[24:25], v[20:21] op_sel:[0,0,1] op_sel_hi:[1,1,0]
	v_pk_fma_f32 v[24:25], v[108:109], v[24:25], v[20:21] op_sel:[0,0,1] op_sel_hi:[1,1,0] neg_lo:[0,0,1] neg_hi:[0,0,1]
	ds_read2_b64 v[20:23], v82 offset0:88 offset1:179
	v_mov_b32_e32 v45, v25
	v_pk_add_f32 v[24:25], v[16:17], v[42:43]
	v_mov_b32_e32 v1, s13
	v_pk_add_f32 v[24:25], v[24:25], v[44:45]
	s_waitcnt lgkmcnt(0)
	v_pk_mul_f32 v[10:11], v[64:65], v[20:21]
	v_pk_mul_f32 v[48:49], v[60:61], v[22:23]
	v_pk_fma_f32 v[46:47], v[106:107], v[20:21], v[10:11] op_sel:[0,0,1] op_sel_hi:[1,1,0]
	v_pk_fma_f32 v[10:11], v[106:107], v[20:21], v[10:11] op_sel:[0,0,1] op_sel_hi:[1,1,0] neg_lo:[0,0,1] neg_hi:[0,0,1]
	v_pk_fma_f32 v[50:51], v[102:103], v[22:23], v[48:49] op_sel:[0,0,1] op_sel_hi:[1,1,0]
	v_mov_b32_e32 v47, v11
	v_pk_mul_f32 v[10:11], v[66:67], v[26:27]
	v_pk_fma_f32 v[22:23], v[102:103], v[22:23], v[48:49] op_sel:[0,0,1] op_sel_hi:[1,1,0] neg_lo:[0,0,1] neg_hi:[0,0,1]
	v_pk_fma_f32 v[20:21], v[104:105], v[26:27], v[10:11] op_sel:[0,0,1] op_sel_hi:[1,1,0]
	v_pk_fma_f32 v[10:11], v[104:105], v[26:27], v[10:11] op_sel:[0,0,1] op_sel_hi:[1,1,0] neg_lo:[0,0,1] neg_hi:[0,0,1]
	ds_read_b64 v[26:27], v214 offset:10192
	v_mov_b32_e32 v51, v23
	v_mov_b32_e32 v21, v11
	v_pk_add_f32 v[10:11], v[18:19], v[46:47]
	s_movk_i32 s5, 0x1000
	s_waitcnt lgkmcnt(0)
	v_pk_mul_f32 v[22:23], v[62:63], v[26:27]
	v_pk_add_f32 v[10:11], v[10:11], v[20:21]
	v_pk_fma_f32 v[48:49], v[100:101], v[26:27], v[22:23] op_sel:[0,0,1] op_sel_hi:[1,1,0]
	v_pk_fma_f32 v[22:23], v[100:101], v[26:27], v[22:23] op_sel:[0,0,1] op_sel_hi:[1,1,0] neg_lo:[0,0,1] neg_hi:[0,0,1]
	v_pk_add_f32 v[26:27], v[32:33], v[34:35]
	v_mov_b32_e32 v49, v23
	v_pk_fma_f32 v[12:13], v[26:27], 0.5, v[12:13] op_sel_hi:[1,0,1] neg_lo:[1,0,0] neg_hi:[1,0,0]
	v_pk_add_f32 v[26:27], v[32:33], v[34:35] neg_lo:[0,1] neg_hi:[0,1]
	v_pk_add_f32 v[22:23], v[8:9], v[50:51]
	v_pk_mul_f32 v[26:27], v[26:27], s[0:1] op_sel_hi:[1,0]
	v_pk_add_f32 v[22:23], v[22:23], v[48:49]
	v_pk_add_f32 v[32:33], v[12:13], v[26:27] op_sel:[0,1] op_sel_hi:[1,0] neg_lo:[0,1] neg_hi:[0,1]
	v_pk_add_f32 v[12:13], v[12:13], v[26:27] op_sel:[0,1] op_sel_hi:[1,0]
	v_mov_b32_e32 v26, v32
	v_mov_b32_e32 v27, v13
	;; [unrolled: 1-line block ×3, first 2 shown]
	v_pk_add_f32 v[32:33], v[36:37], v[38:39]
	s_movk_i32 s4, 0x2000
	v_pk_fma_f32 v[14:15], v[32:33], 0.5, v[14:15] op_sel_hi:[1,0,1] neg_lo:[1,0,0] neg_hi:[1,0,0]
	v_pk_add_f32 v[32:33], v[36:37], v[38:39] neg_lo:[0,1] neg_hi:[0,1]
	s_nop 0
	v_pk_mul_f32 v[32:33], v[32:33], s[0:1] op_sel_hi:[1,0]
	s_nop 0
	v_pk_add_f32 v[34:35], v[14:15], v[32:33] op_sel:[0,1] op_sel_hi:[1,0] neg_lo:[0,1] neg_hi:[0,1]
	v_pk_add_f32 v[14:15], v[14:15], v[32:33] op_sel:[0,1] op_sel_hi:[1,0]
	v_mov_b32_e32 v32, v34
	v_mov_b32_e32 v33, v15
	ds_write2_b64 v7, v[26:27], v[32:33] offset0:71 offset1:162
	v_mov_b32_e32 v15, v35
	v_add_u32_e32 v7, 0x1800, v215
	ds_write2_b64 v7, v[12:13], v[14:15] offset0:142 offset1:233
	ds_write2_b64 v215, v[40:41], v[24:25] offset0:91 offset1:182
	v_pk_add_f32 v[12:13], v[42:43], v[44:45]
	v_pk_add_f32 v[14:15], v[42:43], v[44:45] neg_lo:[0,1] neg_hi:[0,1]
	v_pk_fma_f32 v[12:13], v[12:13], 0.5, v[16:17] op_sel_hi:[1,0,1] neg_lo:[1,0,0] neg_hi:[1,0,0]
	v_pk_mul_f32 v[14:15], v[14:15], s[0:1] op_sel_hi:[1,0]
	s_nop 0
	v_pk_add_f32 v[16:17], v[12:13], v[14:15] op_sel:[0,1] op_sel_hi:[1,0] neg_lo:[0,1] neg_hi:[0,1]
	v_pk_add_f32 v[12:13], v[12:13], v[14:15] op_sel:[0,1] op_sel_hi:[1,0]
	v_mov_b32_e32 v14, v16
	v_mov_b32_e32 v15, v13
	;; [unrolled: 1-line block ×3, first 2 shown]
	ds_write_b64 v121, v[14:15] offset:3640
	ds_write_b64 v121, v[12:13] offset:7280
	;; [unrolled: 1-line block ×3, first 2 shown]
	v_pk_add_f32 v[10:11], v[46:47], v[20:21]
	v_pk_add_f32 v[12:13], v[46:47], v[20:21] neg_lo:[0,1] neg_hi:[0,1]
	v_pk_fma_f32 v[10:11], v[10:11], 0.5, v[18:19] op_sel_hi:[1,0,1] neg_lo:[1,0,0] neg_hi:[1,0,0]
	v_pk_mul_f32 v[12:13], v[12:13], s[0:1] op_sel_hi:[1,0]
	v_accvgpr_read_b32 v16, a12
	v_pk_add_f32 v[14:15], v[10:11], v[12:13] op_sel:[0,1] op_sel_hi:[1,0] neg_lo:[0,1] neg_hi:[0,1]
	v_pk_add_f32 v[10:11], v[10:11], v[12:13] op_sel:[0,1] op_sel_hi:[1,0]
	v_mov_b32_e32 v12, v14
	v_mov_b32_e32 v13, v11
	;; [unrolled: 1-line block ×3, first 2 shown]
	ds_write_b64 v120, v[12:13] offset:3640
	ds_write_b64 v120, v[10:11] offset:7280
	;; [unrolled: 1-line block ×3, first 2 shown]
	v_pk_add_f32 v[10:11], v[50:51], v[48:49]
	v_accvgpr_read_b32 v14, a30
	v_pk_fma_f32 v[8:9], v[10:11], 0.5, v[8:9] op_sel_hi:[1,0,1] neg_lo:[1,0,0] neg_hi:[1,0,0]
	v_pk_add_f32 v[10:11], v[50:51], v[48:49] neg_lo:[0,1] neg_hi:[0,1]
	v_accvgpr_read_b32 v15, a31
	v_pk_mul_f32 v[10:11], v[10:11], s[0:1] op_sel_hi:[1,0]
	s_nop 0
	v_pk_add_f32 v[12:13], v[8:9], v[10:11] op_sel:[0,1] op_sel_hi:[1,0] neg_lo:[0,1] neg_hi:[0,1]
	v_pk_add_f32 v[8:9], v[8:9], v[10:11] op_sel:[0,1] op_sel_hi:[1,0]
	v_mov_b32_e32 v10, v12
	v_mov_b32_e32 v11, v9
	;; [unrolled: 1-line block ×3, first 2 shown]
	ds_write_b64 v132, v[10:11] offset:3640
	ds_write_b64 v132, v[8:9] offset:7280
	s_waitcnt lgkmcnt(0)
	s_barrier
	ds_read2_b64 v[8:11], v214 offset1:105
	v_mad_u64_u32 v[12:13], s[0:1], s11, v52, v[30:31]
	v_mov_b32_e32 v29, v12
	s_mov_b32 s0, 0x18018018
	s_waitcnt lgkmcnt(0)
	v_mul_f32_e32 v7, v15, v9
	v_fmac_f32_e32 v7, v14, v8
	v_cvt_f64_f32_e32 v[12:13], v7
	v_mul_f32_e32 v7, v15, v8
	v_fma_f32 v7, v14, v9, -v7
	s_mov_b32 s1, 0x3f480180
	v_cvt_f64_f32_e32 v[8:9], v7
	v_mul_f64 v[12:13], v[12:13], s[0:1]
	v_mul_f64 v[8:9], v[8:9], s[0:1]
	v_cvt_f32_f64_e32 v12, v[12:13]
	v_cvt_f32_f64_e32 v13, v[8:9]
	v_mad_u64_u32 v[8:9], s[2:3], s8, v16, 0
	v_mov_b32_e32 v14, v9
	v_mad_u64_u32 v[14:15], s[2:3], s9, v16, v[14:15]
	v_mov_b32_e32 v9, v14
	v_accvgpr_read_b32 v14, a28
	v_accvgpr_read_b32 v15, a29
	v_mul_f32_e32 v7, v15, v11
	v_lshl_add_u64 v[0:1], v[28:29], 3, v[0:1]
	v_fmac_f32_e32 v7, v14, v10
	v_lshl_add_u64 v[0:1], v[8:9], 3, v[0:1]
	v_cvt_f64_f32_e32 v[8:9], v7
	v_mul_f32_e32 v7, v15, v10
	v_mul_f64 v[8:9], v[8:9], s[0:1]
	v_fma_f32 v7, v14, v11, -v7
	global_store_dwordx2 v[0:1], v[12:13], off
	v_cvt_f32_f64_e32 v12, v[8:9]
	v_cvt_f64_f32_e32 v[8:9], v7
	v_mul_f64 v[8:9], v[8:9], s[0:1]
	v_cvt_f32_f64_e32 v13, v[8:9]
	ds_read2_b64 v[8:11], v5 offset0:82 offset1:187
	s_mul_i32 s2, s9, 0x69
	s_mul_hi_u32 s3, s8, 0x69
	v_accvgpr_read_b32 v14, a26
	s_add_i32 s3, s3, s2
	s_mul_i32 s2, s8, 0x69
	v_accvgpr_read_b32 v15, a27
	s_lshl_b64 s[2:3], s[2:3], 3
	s_waitcnt lgkmcnt(0)
	v_mul_f32_e32 v7, v15, v9
	v_lshl_add_u64 v[0:1], v[0:1], 0, s[2:3]
	v_fmac_f32_e32 v7, v14, v8
	global_store_dwordx2 v[0:1], v[12:13], off
	v_cvt_f64_f32_e32 v[12:13], v7
	v_mul_f32_e32 v7, v15, v8
	v_fma_f32 v7, v14, v9, -v7
	v_accvgpr_read_b32 v14, a24
	v_accvgpr_read_b32 v15, a25
	v_cvt_f64_f32_e32 v[8:9], v7
	v_mul_f32_e32 v7, v15, v11
	v_mul_f64 v[12:13], v[12:13], s[0:1]
	v_mul_f64 v[8:9], v[8:9], s[0:1]
	v_fmac_f32_e32 v7, v14, v10
	v_cvt_f32_f64_e32 v12, v[12:13]
	v_cvt_f32_f64_e32 v13, v[8:9]
	v_cvt_f64_f32_e32 v[8:9], v7
	v_mul_f32_e32 v7, v15, v10
	v_fma_f32 v7, v14, v11, -v7
	v_lshl_add_u64 v[0:1], v[0:1], 0, s[2:3]
	v_mul_f64 v[8:9], v[8:9], s[0:1]
	v_cvt_f64_f32_e32 v[14:15], v7
	v_add_u32_e32 v7, 0xc00, v214
	global_store_dwordx2 v[0:1], v[12:13], off
	v_cvt_f32_f64_e32 v12, v[8:9]
	ds_read2_b64 v[8:11], v7 offset0:36 offset1:141
	v_mul_f64 v[14:15], v[14:15], s[0:1]
	v_cvt_f32_f64_e32 v13, v[14:15]
	v_accvgpr_read_b32 v14, a20
	v_accvgpr_read_b32 v15, a21
	s_waitcnt lgkmcnt(0)
	v_mul_f32_e32 v7, v15, v9
	v_lshl_add_u64 v[0:1], v[0:1], 0, s[2:3]
	v_fmac_f32_e32 v7, v14, v8
	global_store_dwordx2 v[0:1], v[12:13], off
	v_cvt_f64_f32_e32 v[12:13], v7
	v_mul_f32_e32 v7, v15, v8
	v_fma_f32 v7, v14, v9, -v7
	v_accvgpr_read_b32 v14, a22
	v_accvgpr_read_b32 v15, a23
	v_cvt_f64_f32_e32 v[8:9], v7
	v_mul_f32_e32 v7, v15, v11
	v_mul_f64 v[12:13], v[12:13], s[0:1]
	v_mul_f64 v[8:9], v[8:9], s[0:1]
	v_fmac_f32_e32 v7, v14, v10
	v_cvt_f32_f64_e32 v12, v[12:13]
	v_cvt_f32_f64_e32 v13, v[8:9]
	v_cvt_f64_f32_e32 v[8:9], v7
	v_lshl_add_u64 v[0:1], v[0:1], 0, s[2:3]
	v_mul_f64 v[8:9], v[8:9], s[0:1]
	v_mul_f32_e32 v7, v15, v10
	global_store_dwordx2 v[0:1], v[12:13], off
	v_cvt_f32_f64_e32 v12, v[8:9]
	v_fma_f32 v7, v14, v11, -v7
	ds_read2_b64 v[8:11], v3 offset0:118 offset1:223
	v_cvt_f64_f32_e32 v[14:15], v7
	v_mul_f64 v[14:15], v[14:15], s[0:1]
	v_cvt_f32_f64_e32 v13, v[14:15]
	v_accvgpr_read_b32 v14, a16
	v_accvgpr_read_b32 v15, a17
	s_waitcnt lgkmcnt(0)
	v_mul_f32_e32 v7, v15, v9
	v_lshl_add_u64 v[0:1], v[0:1], 0, s[2:3]
	v_fmac_f32_e32 v7, v14, v8
	global_store_dwordx2 v[0:1], v[12:13], off
	v_cvt_f64_f32_e32 v[12:13], v7
	v_mul_f32_e32 v7, v15, v8
	v_fma_f32 v7, v14, v9, -v7
	v_accvgpr_read_b32 v14, a14
	v_accvgpr_read_b32 v15, a15
	v_cvt_f64_f32_e32 v[8:9], v7
	v_mul_f32_e32 v7, v15, v11
	v_mul_f64 v[12:13], v[12:13], s[0:1]
	v_mul_f64 v[8:9], v[8:9], s[0:1]
	v_fmac_f32_e32 v7, v14, v10
	v_cvt_f32_f64_e32 v12, v[12:13]
	v_cvt_f32_f64_e32 v13, v[8:9]
	v_cvt_f64_f32_e32 v[8:9], v7
	v_lshl_add_u64 v[0:1], v[0:1], 0, s[2:3]
	v_mul_f64 v[8:9], v[8:9], s[0:1]
	v_mul_f32_e32 v7, v15, v10
	global_store_dwordx2 v[0:1], v[12:13], off
	v_cvt_f32_f64_e32 v12, v[8:9]
	v_fma_f32 v7, v14, v11, -v7
	ds_read2_b64 v[8:11], v4 offset0:72 offset1:177
	v_cvt_f64_f32_e32 v[14:15], v7
	v_mul_f64 v[14:15], v[14:15], s[0:1]
	v_cvt_f32_f64_e32 v13, v[14:15]
	v_accvgpr_read_b32 v15, a11
	v_accvgpr_read_b32 v14, a10
	s_waitcnt lgkmcnt(0)
	v_mul_f32_e32 v7, v15, v9
	v_lshl_add_u64 v[0:1], v[0:1], 0, s[2:3]
	v_fmac_f32_e32 v7, v14, v8
	global_store_dwordx2 v[0:1], v[12:13], off
	v_cvt_f64_f32_e32 v[12:13], v7
	v_mul_f32_e32 v7, v15, v8
	v_fma_f32 v7, v14, v9, -v7
	v_accvgpr_read_b32 v15, a9
	v_cvt_f64_f32_e32 v[8:9], v7
	v_accvgpr_read_b32 v14, a8
	v_mul_f32_e32 v7, v15, v11
	v_mul_f64 v[12:13], v[12:13], s[0:1]
	v_mul_f64 v[8:9], v[8:9], s[0:1]
	v_fmac_f32_e32 v7, v14, v10
	v_cvt_f32_f64_e32 v12, v[12:13]
	v_cvt_f32_f64_e32 v13, v[8:9]
	v_cvt_f64_f32_e32 v[8:9], v7
	v_lshl_add_u64 v[0:1], v[0:1], 0, s[2:3]
	v_mul_f64 v[8:9], v[8:9], s[0:1]
	v_mul_f32_e32 v7, v15, v10
	global_store_dwordx2 v[0:1], v[12:13], off
	v_cvt_f32_f64_e32 v12, v[8:9]
	v_fma_f32 v7, v14, v11, -v7
	ds_read2_b64 v[8:11], v2 offset0:26 offset1:131
	v_cvt_f64_f32_e32 v[14:15], v7
	v_mul_f64 v[14:15], v[14:15], s[0:1]
	v_cvt_f32_f64_e32 v13, v[14:15]
	v_accvgpr_read_b32 v15, a7
	v_accvgpr_read_b32 v14, a6
	s_waitcnt lgkmcnt(0)
	v_mul_f32_e32 v7, v15, v9
	v_lshl_add_u64 v[0:1], v[0:1], 0, s[2:3]
	v_fmac_f32_e32 v7, v14, v8
	global_store_dwordx2 v[0:1], v[12:13], off
	v_cvt_f64_f32_e32 v[12:13], v7
	v_mul_f32_e32 v7, v15, v8
	v_fma_f32 v7, v14, v9, -v7
	v_cvt_f64_f32_e32 v[8:9], v7
	v_mul_f64 v[12:13], v[12:13], s[0:1]
	v_mul_f64 v[8:9], v[8:9], s[0:1]
	v_cvt_f32_f64_e32 v12, v[12:13]
	v_cvt_f32_f64_e32 v13, v[8:9]
	v_lshl_add_u64 v[0:1], v[0:1], 0, s[2:3]
	global_store_dwordx2 v[0:1], v[12:13], off
	v_accvgpr_read_b32 v13, a5
	v_accvgpr_read_b32 v12, a4
	v_mul_f32_e32 v7, v13, v11
	v_fmac_f32_e32 v7, v12, v10
	v_cvt_f64_f32_e32 v[8:9], v7
	v_mul_f32_e32 v7, v13, v10
	v_fma_f32 v7, v12, v11, -v7
	ds_read_b64 v[12:13], v214 offset:10080
	v_cvt_f64_f32_e32 v[10:11], v7
	v_mul_f64 v[8:9], v[8:9], s[0:1]
	v_mul_f64 v[10:11], v[10:11], s[0:1]
	v_cvt_f32_f64_e32 v8, v[8:9]
	v_cvt_f32_f64_e32 v9, v[10:11]
	v_accvgpr_read_b32 v11, a3
	v_accvgpr_read_b32 v10, a2
	s_waitcnt lgkmcnt(0)
	v_mul_f32_e32 v7, v11, v13
	v_lshl_add_u64 v[0:1], v[0:1], 0, s[2:3]
	v_fmac_f32_e32 v7, v10, v12
	global_store_dwordx2 v[0:1], v[8:9], off
	v_cvt_f64_f32_e32 v[8:9], v7
	v_mul_f32_e32 v7, v11, v12
	v_fma_f32 v7, v10, v13, -v7
	v_cvt_f64_f32_e32 v[10:11], v7
	v_mul_f64 v[8:9], v[8:9], s[0:1]
	v_mul_f64 v[10:11], v[10:11], s[0:1]
	v_cvt_f32_f64_e32 v8, v[8:9]
	v_cvt_f32_f64_e32 v9, v[10:11]
	v_lshl_add_u64 v[0:1], v[0:1], 0, s[2:3]
	global_store_dwordx2 v[0:1], v[8:9], off
	s_and_b64 exec, exec, s[6:7]
	s_cbranch_execz .LBB0_23
; %bb.22:
	v_accvgpr_read_b32 v15, a1
	v_accvgpr_read_b32 v14, a0
	global_load_dwordx2 v[8:9], v[14:15], off offset:728
	ds_read_b64 v[10:11], v215 offset:728
	v_mov_b32_e32 v7, 0xffffdb78
	v_mad_u64_u32 v[0:1], s[6:7], s8, v7, v[0:1]
	s_mulk_i32 s9, 0xdb78
	s_sub_i32 s6, s9, s8
	v_add_u32_e32 v1, s6, v1
	s_waitcnt vmcnt(0) lgkmcnt(0)
	v_mul_f32_e32 v7, v11, v9
	v_mul_f32_e32 v9, v10, v9
	v_fmac_f32_e32 v7, v10, v8
	v_fma_f32 v10, v8, v11, -v9
	v_cvt_f64_f32_e32 v[8:9], v7
	v_cvt_f64_f32_e32 v[10:11], v10
	v_mul_f64 v[8:9], v[8:9], s[0:1]
	v_mul_f64 v[10:11], v[10:11], s[0:1]
	v_cvt_f32_f64_e32 v8, v[8:9]
	v_cvt_f32_f64_e32 v9, v[10:11]
	global_store_dwordx2 v[0:1], v[8:9], off
	global_load_dwordx2 v[12:13], v[14:15], off offset:1568
	ds_read2_b64 v[8:11], v5 offset0:68 offset1:173
	v_lshl_add_u64 v[0:1], v[0:1], 0, s[2:3]
	s_waitcnt vmcnt(0) lgkmcnt(0)
	v_mul_f32_e32 v5, v9, v13
	v_mul_f32_e32 v7, v8, v13
	v_fmac_f32_e32 v5, v8, v12
	v_fma_f32 v7, v12, v9, -v7
	v_cvt_f64_f32_e32 v[8:9], v5
	v_cvt_f64_f32_e32 v[12:13], v7
	v_mul_f64 v[8:9], v[8:9], s[0:1]
	v_mul_f64 v[12:13], v[12:13], s[0:1]
	v_cvt_f32_f64_e32 v8, v[8:9]
	v_cvt_f32_f64_e32 v9, v[12:13]
	global_store_dwordx2 v[0:1], v[8:9], off
	global_load_dwordx2 v[8:9], v[14:15], off offset:2408
	v_lshl_add_u64 v[0:1], v[0:1], 0, s[2:3]
	s_waitcnt vmcnt(0)
	v_mul_f32_e32 v5, v11, v9
	v_mul_f32_e32 v7, v10, v9
	v_fmac_f32_e32 v5, v10, v8
	v_fma_f32 v7, v8, v11, -v7
	v_cvt_f64_f32_e32 v[8:9], v5
	v_cvt_f64_f32_e32 v[10:11], v7
	v_mul_f64 v[8:9], v[8:9], s[0:1]
	v_mul_f64 v[10:11], v[10:11], s[0:1]
	v_cvt_f32_f64_e32 v8, v[8:9]
	v_cvt_f32_f64_e32 v9, v[10:11]
	global_store_dwordx2 v[0:1], v[8:9], off
	global_load_dwordx2 v[10:11], v[14:15], off offset:3248
	ds_read2_b64 v[6:9], v6 offset0:150 offset1:255
	v_lshl_add_u64 v[0:1], v[0:1], 0, s[2:3]
	s_waitcnt vmcnt(0) lgkmcnt(0)
	v_mul_f32_e32 v5, v7, v11
	v_mul_f32_e32 v11, v6, v11
	v_fmac_f32_e32 v5, v6, v10
	v_fma_f32 v10, v10, v7, -v11
	v_cvt_f64_f32_e32 v[6:7], v5
	v_cvt_f64_f32_e32 v[10:11], v10
	v_mul_f64 v[6:7], v[6:7], s[0:1]
	v_mul_f64 v[10:11], v[10:11], s[0:1]
	v_cvt_f32_f64_e32 v6, v[6:7]
	v_cvt_f32_f64_e32 v7, v[10:11]
	global_store_dwordx2 v[0:1], v[6:7], off
	global_load_dwordx2 v[6:7], v[14:15], off offset:4088
	v_add_co_u32_e32 v10, vcc, s5, v14
	v_lshl_add_u64 v[0:1], v[0:1], 0, s[2:3]
	s_nop 0
	v_addc_co_u32_e32 v11, vcc, 0, v15, vcc
	s_waitcnt vmcnt(0)
	v_mul_f32_e32 v5, v9, v7
	v_mul_f32_e32 v7, v8, v7
	v_fmac_f32_e32 v5, v8, v6
	v_fma_f32 v8, v6, v9, -v7
	v_cvt_f64_f32_e32 v[6:7], v5
	v_cvt_f64_f32_e32 v[8:9], v8
	v_mul_f64 v[6:7], v[6:7], s[0:1]
	v_mul_f64 v[8:9], v[8:9], s[0:1]
	v_cvt_f32_f64_e32 v6, v[6:7]
	v_cvt_f32_f64_e32 v7, v[8:9]
	global_store_dwordx2 v[0:1], v[6:7], off
	global_load_dwordx2 v[12:13], v[10:11], off offset:832
	ds_read2_b64 v[6:9], v3 offset0:104 offset1:209
	v_lshl_add_u64 v[0:1], v[0:1], 0, s[2:3]
	s_waitcnt vmcnt(0) lgkmcnt(0)
	v_mul_f32_e32 v3, v7, v13
	v_mul_f32_e32 v5, v6, v13
	v_fmac_f32_e32 v3, v6, v12
	v_fma_f32 v5, v12, v7, -v5
	v_cvt_f64_f32_e32 v[6:7], v3
	v_cvt_f64_f32_e32 v[12:13], v5
	v_mul_f64 v[6:7], v[6:7], s[0:1]
	v_mul_f64 v[12:13], v[12:13], s[0:1]
	v_cvt_f32_f64_e32 v6, v[6:7]
	v_cvt_f32_f64_e32 v7, v[12:13]
	global_store_dwordx2 v[0:1], v[6:7], off
	global_load_dwordx2 v[6:7], v[10:11], off offset:1672
	v_lshl_add_u64 v[0:1], v[0:1], 0, s[2:3]
	s_waitcnt vmcnt(0)
	v_mul_f32_e32 v3, v9, v7
	v_mul_f32_e32 v5, v8, v7
	v_fmac_f32_e32 v3, v8, v6
	v_fma_f32 v5, v6, v9, -v5
	v_cvt_f64_f32_e32 v[6:7], v3
	v_cvt_f64_f32_e32 v[8:9], v5
	v_mul_f64 v[6:7], v[6:7], s[0:1]
	v_mul_f64 v[8:9], v[8:9], s[0:1]
	v_cvt_f32_f64_e32 v6, v[6:7]
	v_cvt_f32_f64_e32 v7, v[8:9]
	global_store_dwordx2 v[0:1], v[6:7], off
	global_load_dwordx2 v[8:9], v[10:11], off offset:2512
	ds_read2_b64 v[4:7], v4 offset0:58 offset1:163
	v_lshl_add_u64 v[0:1], v[0:1], 0, s[2:3]
	s_waitcnt vmcnt(0) lgkmcnt(0)
	v_mul_f32_e32 v3, v5, v9
	v_mul_f32_e32 v9, v4, v9
	v_fmac_f32_e32 v3, v4, v8
	v_fma_f32 v8, v8, v5, -v9
	v_cvt_f64_f32_e32 v[4:5], v3
	v_cvt_f64_f32_e32 v[8:9], v8
	v_mul_f64 v[4:5], v[4:5], s[0:1]
	v_mul_f64 v[8:9], v[8:9], s[0:1]
	v_cvt_f32_f64_e32 v4, v[4:5]
	v_cvt_f32_f64_e32 v5, v[8:9]
	global_store_dwordx2 v[0:1], v[4:5], off
	global_load_dwordx2 v[4:5], v[10:11], off offset:3352
	v_lshl_add_u64 v[10:11], v[0:1], 0, s[2:3]
	v_add_co_u32_e32 v8, vcc, s4, v14
	s_waitcnt vmcnt(0)
	v_mul_f32_e32 v0, v7, v5
	v_mul_f32_e32 v1, v6, v5
	v_fmac_f32_e32 v0, v6, v4
	v_fma_f32 v3, v4, v7, -v1
	v_cvt_f64_f32_e32 v[0:1], v0
	v_cvt_f64_f32_e32 v[4:5], v3
	v_mul_f64 v[0:1], v[0:1], s[0:1]
	v_mul_f64 v[4:5], v[4:5], s[0:1]
	v_cvt_f32_f64_e32 v0, v[0:1]
	v_cvt_f32_f64_e32 v1, v[4:5]
	v_addc_co_u32_e32 v9, vcc, 0, v15, vcc
	global_store_dwordx2 v[10:11], v[0:1], off
	global_load_dwordx2 v[4:5], v[8:9], off offset:96
	ds_read2_b64 v[0:3], v2 offset0:12 offset1:117
	v_lshl_add_u64 v[6:7], v[10:11], 0, s[2:3]
	s_waitcnt vmcnt(0) lgkmcnt(0)
	v_mul_f32_e32 v10, v1, v5
	v_mul_f32_e32 v5, v0, v5
	v_fmac_f32_e32 v10, v0, v4
	v_fma_f32 v4, v4, v1, -v5
	v_cvt_f64_f32_e32 v[0:1], v10
	v_cvt_f64_f32_e32 v[4:5], v4
	v_mul_f64 v[0:1], v[0:1], s[0:1]
	v_mul_f64 v[4:5], v[4:5], s[0:1]
	v_cvt_f32_f64_e32 v0, v[0:1]
	v_cvt_f32_f64_e32 v1, v[4:5]
	global_store_dwordx2 v[6:7], v[0:1], off
	global_load_dwordx2 v[0:1], v[8:9], off offset:936
	v_lshl_add_u64 v[4:5], v[6:7], 0, s[2:3]
	s_waitcnt vmcnt(0)
	v_mul_f32_e32 v6, v3, v1
	v_mul_f32_e32 v1, v2, v1
	v_fmac_f32_e32 v6, v2, v0
	v_fma_f32 v2, v0, v3, -v1
	v_cvt_f64_f32_e32 v[0:1], v6
	v_cvt_f64_f32_e32 v[2:3], v2
	v_mul_f64 v[0:1], v[0:1], s[0:1]
	v_mul_f64 v[2:3], v[2:3], s[0:1]
	v_cvt_f32_f64_e32 v0, v[0:1]
	v_cvt_f32_f64_e32 v1, v[2:3]
	global_store_dwordx2 v[4:5], v[0:1], off
	global_load_dwordx2 v[6:7], v[8:9], off offset:1776
	v_add_u32_e32 v0, 0x2400, v214
	ds_read2_b64 v[0:3], v0 offset0:94 offset1:199
	v_lshl_add_u64 v[4:5], v[4:5], 0, s[2:3]
	s_waitcnt vmcnt(0) lgkmcnt(0)
	v_mul_f32_e32 v10, v1, v7
	v_mul_f32_e32 v7, v0, v7
	v_fmac_f32_e32 v10, v0, v6
	v_fma_f32 v6, v6, v1, -v7
	v_cvt_f64_f32_e32 v[0:1], v10
	v_cvt_f64_f32_e32 v[6:7], v6
	v_mul_f64 v[0:1], v[0:1], s[0:1]
	v_mul_f64 v[6:7], v[6:7], s[0:1]
	v_cvt_f32_f64_e32 v0, v[0:1]
	v_cvt_f32_f64_e32 v1, v[6:7]
	global_store_dwordx2 v[4:5], v[0:1], off
	global_load_dwordx2 v[0:1], v[8:9], off offset:2616
	s_waitcnt vmcnt(0)
	v_mul_f32_e32 v6, v3, v1
	v_mul_f32_e32 v1, v2, v1
	v_fmac_f32_e32 v6, v2, v0
	v_fma_f32 v2, v0, v3, -v1
	v_cvt_f64_f32_e32 v[0:1], v6
	v_cvt_f64_f32_e32 v[2:3], v2
	v_mul_f64 v[0:1], v[0:1], s[0:1]
	v_mul_f64 v[2:3], v[2:3], s[0:1]
	v_cvt_f32_f64_e32 v0, v[0:1]
	v_cvt_f32_f64_e32 v1, v[2:3]
	v_lshl_add_u64 v[2:3], v[4:5], 0, s[2:3]
	global_store_dwordx2 v[2:3], v[0:1], off
.LBB0_23:
	s_endpgm
	.section	.rodata,"a",@progbits
	.p2align	6, 0x0
	.amdhsa_kernel bluestein_single_fwd_len1365_dim1_sp_op_CI_CI
		.amdhsa_group_segment_fixed_size 21840
		.amdhsa_private_segment_fixed_size 0
		.amdhsa_kernarg_size 104
		.amdhsa_user_sgpr_count 2
		.amdhsa_user_sgpr_dispatch_ptr 0
		.amdhsa_user_sgpr_queue_ptr 0
		.amdhsa_user_sgpr_kernarg_segment_ptr 1
		.amdhsa_user_sgpr_dispatch_id 0
		.amdhsa_user_sgpr_kernarg_preload_length 0
		.amdhsa_user_sgpr_kernarg_preload_offset 0
		.amdhsa_user_sgpr_private_segment_size 0
		.amdhsa_uses_dynamic_stack 0
		.amdhsa_enable_private_segment 0
		.amdhsa_system_sgpr_workgroup_id_x 1
		.amdhsa_system_sgpr_workgroup_id_y 0
		.amdhsa_system_sgpr_workgroup_id_z 0
		.amdhsa_system_sgpr_workgroup_info 0
		.amdhsa_system_vgpr_workitem_id 0
		.amdhsa_next_free_vgpr 378
		.amdhsa_next_free_sgpr 62
		.amdhsa_accum_offset 256
		.amdhsa_reserve_vcc 1
		.amdhsa_float_round_mode_32 0
		.amdhsa_float_round_mode_16_64 0
		.amdhsa_float_denorm_mode_32 3
		.amdhsa_float_denorm_mode_16_64 3
		.amdhsa_dx10_clamp 1
		.amdhsa_ieee_mode 1
		.amdhsa_fp16_overflow 0
		.amdhsa_tg_split 0
		.amdhsa_exception_fp_ieee_invalid_op 0
		.amdhsa_exception_fp_denorm_src 0
		.amdhsa_exception_fp_ieee_div_zero 0
		.amdhsa_exception_fp_ieee_overflow 0
		.amdhsa_exception_fp_ieee_underflow 0
		.amdhsa_exception_fp_ieee_inexact 0
		.amdhsa_exception_int_div_zero 0
	.end_amdhsa_kernel
	.text
.Lfunc_end0:
	.size	bluestein_single_fwd_len1365_dim1_sp_op_CI_CI, .Lfunc_end0-bluestein_single_fwd_len1365_dim1_sp_op_CI_CI
                                        ; -- End function
	.section	.AMDGPU.csdata,"",@progbits
; Kernel info:
; codeLenInByte = 27492
; NumSgprs: 68
; NumVgprs: 256
; NumAgprs: 122
; TotalNumVgprs: 378
; ScratchSize: 0
; MemoryBound: 0
; FloatMode: 240
; IeeeMode: 1
; LDSByteSize: 21840 bytes/workgroup (compile time only)
; SGPRBlocks: 8
; VGPRBlocks: 47
; NumSGPRsForWavesPerEU: 68
; NumVGPRsForWavesPerEU: 378
; AccumOffset: 256
; Occupancy: 1
; WaveLimiterHint : 1
; COMPUTE_PGM_RSRC2:SCRATCH_EN: 0
; COMPUTE_PGM_RSRC2:USER_SGPR: 2
; COMPUTE_PGM_RSRC2:TRAP_HANDLER: 0
; COMPUTE_PGM_RSRC2:TGID_X_EN: 1
; COMPUTE_PGM_RSRC2:TGID_Y_EN: 0
; COMPUTE_PGM_RSRC2:TGID_Z_EN: 0
; COMPUTE_PGM_RSRC2:TIDIG_COMP_CNT: 0
; COMPUTE_PGM_RSRC3_GFX90A:ACCUM_OFFSET: 63
; COMPUTE_PGM_RSRC3_GFX90A:TG_SPLIT: 0
	.text
	.p2alignl 6, 3212836864
	.fill 256, 4, 3212836864
	.type	__hip_cuid_dfad3d3e65bc5055,@object ; @__hip_cuid_dfad3d3e65bc5055
	.section	.bss,"aw",@nobits
	.globl	__hip_cuid_dfad3d3e65bc5055
__hip_cuid_dfad3d3e65bc5055:
	.byte	0                               ; 0x0
	.size	__hip_cuid_dfad3d3e65bc5055, 1

	.ident	"AMD clang version 19.0.0git (https://github.com/RadeonOpenCompute/llvm-project roc-6.4.0 25133 c7fe45cf4b819c5991fe208aaa96edf142730f1d)"
	.section	".note.GNU-stack","",@progbits
	.addrsig
	.addrsig_sym __hip_cuid_dfad3d3e65bc5055
	.amdgpu_metadata
---
amdhsa.kernels:
  - .agpr_count:     122
    .args:
      - .actual_access:  read_only
        .address_space:  global
        .offset:         0
        .size:           8
        .value_kind:     global_buffer
      - .actual_access:  read_only
        .address_space:  global
        .offset:         8
        .size:           8
        .value_kind:     global_buffer
      - .actual_access:  read_only
        .address_space:  global
        .offset:         16
        .size:           8
        .value_kind:     global_buffer
      - .actual_access:  read_only
        .address_space:  global
        .offset:         24
        .size:           8
        .value_kind:     global_buffer
      - .actual_access:  read_only
        .address_space:  global
        .offset:         32
        .size:           8
        .value_kind:     global_buffer
      - .offset:         40
        .size:           8
        .value_kind:     by_value
      - .address_space:  global
        .offset:         48
        .size:           8
        .value_kind:     global_buffer
      - .address_space:  global
        .offset:         56
        .size:           8
        .value_kind:     global_buffer
      - .address_space:  global
        .offset:         64
        .size:           8
        .value_kind:     global_buffer
      - .address_space:  global
        .offset:         72
        .size:           8
        .value_kind:     global_buffer
      - .offset:         80
        .size:           4
        .value_kind:     by_value
      - .address_space:  global
        .offset:         88
        .size:           8
        .value_kind:     global_buffer
      - .address_space:  global
        .offset:         96
        .size:           8
        .value_kind:     global_buffer
    .group_segment_fixed_size: 21840
    .kernarg_segment_align: 8
    .kernarg_segment_size: 104
    .language:       OpenCL C
    .language_version:
      - 2
      - 0
    .max_flat_workgroup_size: 182
    .name:           bluestein_single_fwd_len1365_dim1_sp_op_CI_CI
    .private_segment_fixed_size: 0
    .sgpr_count:     68
    .sgpr_spill_count: 0
    .symbol:         bluestein_single_fwd_len1365_dim1_sp_op_CI_CI.kd
    .uniform_work_group_size: 1
    .uses_dynamic_stack: false
    .vgpr_count:     378
    .vgpr_spill_count: 0
    .wavefront_size: 64
amdhsa.target:   amdgcn-amd-amdhsa--gfx950
amdhsa.version:
  - 1
  - 2
...

	.end_amdgpu_metadata
